;; amdgpu-corpus repo=ROCm/rocFFT kind=compiled arch=gfx1201 opt=O3
	.text
	.amdgcn_target "amdgcn-amd-amdhsa--gfx1201"
	.amdhsa_code_object_version 6
	.protected	fft_rtc_back_len2430_factors_10_3_3_3_3_3_wgs_81_tpt_81_halfLds_dp_op_CI_CI_sbrr_dirReg ; -- Begin function fft_rtc_back_len2430_factors_10_3_3_3_3_3_wgs_81_tpt_81_halfLds_dp_op_CI_CI_sbrr_dirReg
	.globl	fft_rtc_back_len2430_factors_10_3_3_3_3_3_wgs_81_tpt_81_halfLds_dp_op_CI_CI_sbrr_dirReg
	.p2align	8
	.type	fft_rtc_back_len2430_factors_10_3_3_3_3_3_wgs_81_tpt_81_halfLds_dp_op_CI_CI_sbrr_dirReg,@function
fft_rtc_back_len2430_factors_10_3_3_3_3_3_wgs_81_tpt_81_halfLds_dp_op_CI_CI_sbrr_dirReg: ; @fft_rtc_back_len2430_factors_10_3_3_3_3_3_wgs_81_tpt_81_halfLds_dp_op_CI_CI_sbrr_dirReg
; %bb.0:
	s_clause 0x2
	s_load_b128 s[12:15], s[0:1], 0x18
	s_load_b128 s[8:11], s[0:1], 0x0
	;; [unrolled: 1-line block ×3, first 2 shown]
	v_mul_u32_u24_e32 v1, 0x32a, v0
	v_mov_b32_e32 v4, 0
	v_mov_b32_e32 v5, 0
	s_wait_kmcnt 0x0
	s_load_b64 s[18:19], s[12:13], 0x0
	s_load_b64 s[16:17], s[14:15], 0x0
	v_lshrrev_b32_e32 v2, 16, v1
	v_mov_b32_e32 v1, 0
	v_cmp_lt_u64_e64 s2, s[10:11], 2
	s_delay_alu instid0(VALU_DEP_2) | instskip(NEXT) | instid1(VALU_DEP_2)
	v_dual_mov_b32 v7, v1 :: v_dual_add_nc_u32 v6, ttmp9, v2
	s_and_b32 vcc_lo, exec_lo, s2
	s_cbranch_vccnz .LBB0_8
; %bb.1:
	s_load_b64 s[2:3], s[0:1], 0x10
	v_mov_b32_e32 v4, 0
	v_mov_b32_e32 v5, 0
	s_add_nc_u64 s[20:21], s[14:15], 8
	s_add_nc_u64 s[22:23], s[12:13], 8
	s_mov_b64 s[24:25], 1
	s_delay_alu instid0(VALU_DEP_1)
	v_dual_mov_b32 v161, v5 :: v_dual_mov_b32 v160, v4
	s_wait_kmcnt 0x0
	s_add_nc_u64 s[26:27], s[2:3], 8
	s_mov_b32 s3, 0
.LBB0_2:                                ; =>This Inner Loop Header: Depth=1
	s_load_b64 s[28:29], s[26:27], 0x0
                                        ; implicit-def: $vgpr126_vgpr127
	s_mov_b32 s2, exec_lo
	s_wait_kmcnt 0x0
	v_or_b32_e32 v2, s29, v7
	s_delay_alu instid0(VALU_DEP_1)
	v_cmpx_ne_u64_e32 0, v[1:2]
	s_wait_alu 0xfffe
	s_xor_b32 s30, exec_lo, s2
	s_cbranch_execz .LBB0_4
; %bb.3:                                ;   in Loop: Header=BB0_2 Depth=1
	s_cvt_f32_u32 s2, s28
	s_cvt_f32_u32 s31, s29
	s_sub_nc_u64 s[36:37], 0, s[28:29]
	s_wait_alu 0xfffe
	s_delay_alu instid0(SALU_CYCLE_1) | instskip(SKIP_1) | instid1(SALU_CYCLE_2)
	s_fmamk_f32 s2, s31, 0x4f800000, s2
	s_wait_alu 0xfffe
	v_s_rcp_f32 s2, s2
	s_delay_alu instid0(TRANS32_DEP_1) | instskip(SKIP_1) | instid1(SALU_CYCLE_2)
	s_mul_f32 s2, s2, 0x5f7ffffc
	s_wait_alu 0xfffe
	s_mul_f32 s31, s2, 0x2f800000
	s_wait_alu 0xfffe
	s_delay_alu instid0(SALU_CYCLE_2) | instskip(SKIP_1) | instid1(SALU_CYCLE_2)
	s_trunc_f32 s31, s31
	s_wait_alu 0xfffe
	s_fmamk_f32 s2, s31, 0xcf800000, s2
	s_cvt_u32_f32 s35, s31
	s_wait_alu 0xfffe
	s_delay_alu instid0(SALU_CYCLE_1) | instskip(SKIP_1) | instid1(SALU_CYCLE_2)
	s_cvt_u32_f32 s34, s2
	s_wait_alu 0xfffe
	s_mul_u64 s[38:39], s[36:37], s[34:35]
	s_wait_alu 0xfffe
	s_mul_hi_u32 s41, s34, s39
	s_mul_i32 s40, s34, s39
	s_mul_hi_u32 s2, s34, s38
	s_mul_i32 s33, s35, s38
	s_wait_alu 0xfffe
	s_add_nc_u64 s[40:41], s[2:3], s[40:41]
	s_mul_hi_u32 s31, s35, s38
	s_mul_hi_u32 s42, s35, s39
	s_add_co_u32 s2, s40, s33
	s_wait_alu 0xfffe
	s_add_co_ci_u32 s2, s41, s31
	s_mul_i32 s38, s35, s39
	s_add_co_ci_u32 s39, s42, 0
	s_wait_alu 0xfffe
	s_add_nc_u64 s[38:39], s[2:3], s[38:39]
	s_wait_alu 0xfffe
	v_add_co_u32 v2, s2, s34, s38
	s_delay_alu instid0(VALU_DEP_1) | instskip(SKIP_1) | instid1(VALU_DEP_1)
	s_cmp_lg_u32 s2, 0
	s_add_co_ci_u32 s35, s35, s39
	v_readfirstlane_b32 s34, v2
	s_wait_alu 0xfffe
	s_delay_alu instid0(VALU_DEP_1)
	s_mul_u64 s[36:37], s[36:37], s[34:35]
	s_wait_alu 0xfffe
	s_mul_hi_u32 s39, s34, s37
	s_mul_i32 s38, s34, s37
	s_mul_hi_u32 s2, s34, s36
	s_mul_i32 s33, s35, s36
	s_wait_alu 0xfffe
	s_add_nc_u64 s[38:39], s[2:3], s[38:39]
	s_mul_hi_u32 s31, s35, s36
	s_mul_hi_u32 s34, s35, s37
	s_wait_alu 0xfffe
	s_add_co_u32 s2, s38, s33
	s_add_co_ci_u32 s2, s39, s31
	s_mul_i32 s36, s35, s37
	s_add_co_ci_u32 s37, s34, 0
	s_wait_alu 0xfffe
	s_add_nc_u64 s[36:37], s[2:3], s[36:37]
	s_wait_alu 0xfffe
	v_add_co_u32 v8, s2, v2, s36
	s_delay_alu instid0(VALU_DEP_1) | instskip(SKIP_1) | instid1(VALU_DEP_1)
	s_cmp_lg_u32 s2, 0
	s_add_co_ci_u32 s2, s35, s37
	v_mul_hi_u32 v12, v6, v8
	s_wait_alu 0xfffe
	v_mad_co_u64_u32 v[2:3], null, v6, s2, 0
	v_mad_co_u64_u32 v[8:9], null, v7, v8, 0
	;; [unrolled: 1-line block ×3, first 2 shown]
	s_delay_alu instid0(VALU_DEP_3) | instskip(SKIP_1) | instid1(VALU_DEP_4)
	v_add_co_u32 v2, vcc_lo, v12, v2
	s_wait_alu 0xfffd
	v_add_co_ci_u32_e32 v3, vcc_lo, 0, v3, vcc_lo
	s_delay_alu instid0(VALU_DEP_2) | instskip(SKIP_1) | instid1(VALU_DEP_2)
	v_add_co_u32 v2, vcc_lo, v2, v8
	s_wait_alu 0xfffd
	v_add_co_ci_u32_e32 v2, vcc_lo, v3, v9, vcc_lo
	s_wait_alu 0xfffd
	v_add_co_ci_u32_e32 v3, vcc_lo, 0, v11, vcc_lo
	s_delay_alu instid0(VALU_DEP_2) | instskip(SKIP_1) | instid1(VALU_DEP_2)
	v_add_co_u32 v8, vcc_lo, v2, v10
	s_wait_alu 0xfffd
	v_add_co_ci_u32_e32 v9, vcc_lo, 0, v3, vcc_lo
	s_delay_alu instid0(VALU_DEP_2) | instskip(SKIP_1) | instid1(VALU_DEP_3)
	v_mul_lo_u32 v10, s29, v8
	v_mad_co_u64_u32 v[2:3], null, s28, v8, 0
	v_mul_lo_u32 v11, s28, v9
	s_delay_alu instid0(VALU_DEP_2) | instskip(NEXT) | instid1(VALU_DEP_2)
	v_sub_co_u32 v2, vcc_lo, v6, v2
	v_add3_u32 v3, v3, v11, v10
	s_delay_alu instid0(VALU_DEP_1) | instskip(SKIP_1) | instid1(VALU_DEP_1)
	v_sub_nc_u32_e32 v10, v7, v3
	s_wait_alu 0xfffd
	v_subrev_co_ci_u32_e64 v10, s2, s29, v10, vcc_lo
	v_add_co_u32 v11, s2, v8, 2
	s_wait_alu 0xf1ff
	v_add_co_ci_u32_e64 v12, s2, 0, v9, s2
	v_sub_co_u32 v13, s2, v2, s28
	v_sub_co_ci_u32_e32 v3, vcc_lo, v7, v3, vcc_lo
	s_wait_alu 0xf1ff
	v_subrev_co_ci_u32_e64 v10, s2, 0, v10, s2
	s_delay_alu instid0(VALU_DEP_3) | instskip(NEXT) | instid1(VALU_DEP_3)
	v_cmp_le_u32_e32 vcc_lo, s28, v13
	v_cmp_eq_u32_e64 s2, s29, v3
	s_wait_alu 0xfffd
	v_cndmask_b32_e64 v13, 0, -1, vcc_lo
	v_cmp_le_u32_e32 vcc_lo, s29, v10
	s_wait_alu 0xfffd
	v_cndmask_b32_e64 v14, 0, -1, vcc_lo
	v_cmp_le_u32_e32 vcc_lo, s28, v2
	;; [unrolled: 3-line block ×3, first 2 shown]
	s_wait_alu 0xfffd
	v_cndmask_b32_e64 v15, 0, -1, vcc_lo
	v_cmp_eq_u32_e32 vcc_lo, s29, v10
	s_wait_alu 0xf1ff
	s_delay_alu instid0(VALU_DEP_2)
	v_cndmask_b32_e64 v2, v15, v2, s2
	s_wait_alu 0xfffd
	v_cndmask_b32_e32 v10, v14, v13, vcc_lo
	v_add_co_u32 v13, vcc_lo, v8, 1
	s_wait_alu 0xfffd
	v_add_co_ci_u32_e32 v14, vcc_lo, 0, v9, vcc_lo
	s_delay_alu instid0(VALU_DEP_3) | instskip(SKIP_1) | instid1(VALU_DEP_2)
	v_cmp_ne_u32_e32 vcc_lo, 0, v10
	s_wait_alu 0xfffd
	v_dual_cndmask_b32 v3, v14, v12 :: v_dual_cndmask_b32 v10, v13, v11
	v_cmp_ne_u32_e32 vcc_lo, 0, v2
	s_wait_alu 0xfffd
	s_delay_alu instid0(VALU_DEP_2)
	v_dual_cndmask_b32 v127, v9, v3 :: v_dual_cndmask_b32 v126, v8, v10
.LBB0_4:                                ;   in Loop: Header=BB0_2 Depth=1
	s_wait_alu 0xfffe
	s_and_not1_saveexec_b32 s2, s30
	s_cbranch_execz .LBB0_6
; %bb.5:                                ;   in Loop: Header=BB0_2 Depth=1
	v_cvt_f32_u32_e32 v2, s28
	s_sub_co_i32 s30, 0, s28
	v_mov_b32_e32 v127, v1
	s_delay_alu instid0(VALU_DEP_2) | instskip(NEXT) | instid1(TRANS32_DEP_1)
	v_rcp_iflag_f32_e32 v2, v2
	v_mul_f32_e32 v2, 0x4f7ffffe, v2
	s_delay_alu instid0(VALU_DEP_1) | instskip(SKIP_1) | instid1(VALU_DEP_1)
	v_cvt_u32_f32_e32 v2, v2
	s_wait_alu 0xfffe
	v_mul_lo_u32 v3, s30, v2
	s_delay_alu instid0(VALU_DEP_1) | instskip(NEXT) | instid1(VALU_DEP_1)
	v_mul_hi_u32 v3, v2, v3
	v_add_nc_u32_e32 v2, v2, v3
	s_delay_alu instid0(VALU_DEP_1) | instskip(NEXT) | instid1(VALU_DEP_1)
	v_mul_hi_u32 v2, v6, v2
	v_mul_lo_u32 v3, v2, s28
	v_add_nc_u32_e32 v8, 1, v2
	s_delay_alu instid0(VALU_DEP_2) | instskip(NEXT) | instid1(VALU_DEP_1)
	v_sub_nc_u32_e32 v3, v6, v3
	v_subrev_nc_u32_e32 v9, s28, v3
	v_cmp_le_u32_e32 vcc_lo, s28, v3
	s_wait_alu 0xfffd
	s_delay_alu instid0(VALU_DEP_2) | instskip(NEXT) | instid1(VALU_DEP_1)
	v_dual_cndmask_b32 v3, v3, v9 :: v_dual_cndmask_b32 v2, v2, v8
	v_cmp_le_u32_e32 vcc_lo, s28, v3
	s_delay_alu instid0(VALU_DEP_2) | instskip(SKIP_1) | instid1(VALU_DEP_1)
	v_add_nc_u32_e32 v8, 1, v2
	s_wait_alu 0xfffd
	v_cndmask_b32_e32 v126, v2, v8, vcc_lo
.LBB0_6:                                ;   in Loop: Header=BB0_2 Depth=1
	s_wait_alu 0xfffe
	s_or_b32 exec_lo, exec_lo, s2
	v_mul_lo_u32 v8, v127, s28
	s_delay_alu instid0(VALU_DEP_2)
	v_mul_lo_u32 v9, v126, s29
	s_load_b64 s[30:31], s[22:23], 0x0
	v_mad_co_u64_u32 v[2:3], null, v126, s28, 0
	s_load_b64 s[28:29], s[20:21], 0x0
	s_add_nc_u64 s[24:25], s[24:25], 1
	s_add_nc_u64 s[20:21], s[20:21], 8
	s_wait_alu 0xfffe
	v_cmp_ge_u64_e64 s2, s[24:25], s[10:11]
	s_add_nc_u64 s[22:23], s[22:23], 8
	s_add_nc_u64 s[26:27], s[26:27], 8
	v_add3_u32 v3, v3, v9, v8
	v_sub_co_u32 v2, vcc_lo, v6, v2
	s_wait_alu 0xfffd
	s_delay_alu instid0(VALU_DEP_2) | instskip(SKIP_2) | instid1(VALU_DEP_1)
	v_sub_co_ci_u32_e32 v3, vcc_lo, v7, v3, vcc_lo
	s_and_b32 vcc_lo, exec_lo, s2
	s_wait_kmcnt 0x0
	v_mul_lo_u32 v6, s30, v3
	v_mul_lo_u32 v7, s31, v2
	v_mad_co_u64_u32 v[4:5], null, s30, v2, v[4:5]
	v_mul_lo_u32 v3, s28, v3
	v_mul_lo_u32 v8, s29, v2
	v_mad_co_u64_u32 v[160:161], null, s28, v2, v[160:161]
	s_delay_alu instid0(VALU_DEP_4) | instskip(NEXT) | instid1(VALU_DEP_2)
	v_add3_u32 v5, v7, v5, v6
	v_add3_u32 v161, v8, v161, v3
	s_wait_alu 0xfffe
	s_cbranch_vccnz .LBB0_9
; %bb.7:                                ;   in Loop: Header=BB0_2 Depth=1
	v_dual_mov_b32 v6, v126 :: v_dual_mov_b32 v7, v127
	s_branch .LBB0_2
.LBB0_8:
	v_dual_mov_b32 v161, v5 :: v_dual_mov_b32 v160, v4
	s_delay_alu instid0(VALU_DEP_2)
	v_dual_mov_b32 v127, v7 :: v_dual_mov_b32 v126, v6
.LBB0_9:
	s_load_b64 s[0:1], s[0:1], 0x28
	v_mul_hi_u32 v1, 0x3291620, v0
	s_lshl_b64 s[10:11], s[10:11], 3
                                        ; implicit-def: $vgpr198
                                        ; implicit-def: $vgpr185
                                        ; implicit-def: $vgpr188
                                        ; implicit-def: $vgpr182
                                        ; implicit-def: $vgpr186
                                        ; implicit-def: $vgpr189
                                        ; implicit-def: $vgpr183
                                        ; implicit-def: $vgpr187
                                        ; implicit-def: $vgpr190
                                        ; implicit-def: $vgpr184
	s_wait_kmcnt 0x0
	v_cmp_gt_u64_e32 vcc_lo, s[0:1], v[126:127]
	v_cmp_le_u64_e64 s0, s[0:1], v[126:127]
	s_delay_alu instid0(VALU_DEP_1)
	s_and_saveexec_b32 s1, s0
	s_wait_alu 0xfffe
	s_xor_b32 s0, exec_lo, s1
; %bb.10:
	v_mul_u32_u24_e32 v1, 0x51, v1
                                        ; implicit-def: $vgpr4_vgpr5
	s_delay_alu instid0(VALU_DEP_1) | instskip(NEXT) | instid1(VALU_DEP_1)
	v_sub_nc_u32_e32 v198, v0, v1
                                        ; implicit-def: $vgpr1
                                        ; implicit-def: $vgpr0
	v_add_nc_u32_e32 v185, 0x51, v198
	v_add_nc_u32_e32 v188, 0xa2, v198
	;; [unrolled: 1-line block ×9, first 2 shown]
; %bb.11:
	s_wait_alu 0xfffe
	s_or_saveexec_b32 s1, s0
	s_add_nc_u64 s[2:3], s[14:15], s[10:11]
                                        ; implicit-def: $vgpr18_vgpr19
                                        ; implicit-def: $vgpr14_vgpr15
                                        ; implicit-def: $vgpr42_vgpr43
                                        ; implicit-def: $vgpr46_vgpr47
                                        ; implicit-def: $vgpr58_vgpr59
                                        ; implicit-def: $vgpr70_vgpr71
                                        ; implicit-def: $vgpr54_vgpr55
                                        ; implicit-def: $vgpr66_vgpr67
                                        ; implicit-def: $vgpr62_vgpr63
                                        ; implicit-def: $vgpr74_vgpr75
                                        ; implicit-def: $vgpr22_vgpr23
                                        ; implicit-def: $vgpr26_vgpr27
                                        ; implicit-def: $vgpr50_vgpr51
                                        ; implicit-def: $vgpr86_vgpr87
                                        ; implicit-def: $vgpr78_vgpr79
                                        ; implicit-def: $vgpr94_vgpr95
                                        ; implicit-def: $vgpr82_vgpr83
                                        ; implicit-def: $vgpr98_vgpr99
                                        ; implicit-def: $vgpr90_vgpr91
                                        ; implicit-def: $vgpr102_vgpr103
                                        ; implicit-def: $vgpr30_vgpr31
                                        ; implicit-def: $vgpr34_vgpr35
                                        ; implicit-def: $vgpr106_vgpr107
                                        ; implicit-def: $vgpr110_vgpr111
                                        ; implicit-def: $vgpr114_vgpr115
                                        ; implicit-def: $vgpr118_vgpr119
                                        ; implicit-def: $vgpr10_vgpr11
                                        ; implicit-def: $vgpr38_vgpr39
                                        ; implicit-def: $vgpr2_vgpr3
                                        ; implicit-def: $vgpr6_vgpr7
	s_wait_alu 0xfffe
	s_xor_b32 exec_lo, exec_lo, s1
	s_cbranch_execz .LBB0_13
; %bb.12:
	v_mul_u32_u24_e32 v1, 0x51, v1
	s_add_nc_u64 s[10:11], s[12:13], s[10:11]
	s_load_b64 s[10:11], s[10:11], 0x0
	s_delay_alu instid0(VALU_DEP_1) | instskip(SKIP_1) | instid1(VALU_DEP_2)
	v_sub_nc_u32_e32 v198, v0, v1
	v_lshlrev_b64_e32 v[0:1], 4, v[4:5]
	v_add_nc_u32_e32 v182, 0xf3, v198
	v_mad_co_u64_u32 v[2:3], null, s18, v198, 0
	v_add_nc_u32_e32 v18, 0x3cc, v198
	v_add_nc_u32_e32 v21, 0x5b2, v198
	s_delay_alu instid0(VALU_DEP_4) | instskip(SKIP_2) | instid1(VALU_DEP_4)
	v_mad_co_u64_u32 v[4:5], null, s18, v182, 0
	v_add_nc_u32_e32 v186, 0x144, v198
	v_add_nc_u32_e32 v187, 0x237, v198
	v_mad_co_u64_u32 v[19:20], null, s18, v21, 0
	v_add_nc_u32_e32 v47, 0x510, v198
	v_add_nc_u32_e32 v49, 0x603, v198
	v_mad_co_u64_u32 v[12:13], null, s19, v198, v[3:4]
	v_mad_co_u64_u32 v[13:14], null, s18, v18, 0
	v_add_nc_u32_e32 v183, 0x1e6, v198
	s_wait_kmcnt 0x0
	v_mul_lo_u32 v15, s11, v126
	v_mul_lo_u32 v16, s10, v127
	v_mad_co_u64_u32 v[8:9], null, s10, v126, 0
	v_mad_co_u64_u32 v[6:7], null, s18, v183, 0
	v_dual_mov_b32 v3, v5 :: v_dual_add_nc_u32 v184, 0x2d9, v198
	v_mad_co_u64_u32 v[45:46], null, s18, v49, 0
	s_delay_alu instid0(VALU_DEP_4) | instskip(SKIP_3) | instid1(VALU_DEP_4)
	v_add3_u32 v9, v9, v16, v15
	v_add_nc_u32_e32 v53, 0x7e9, v198
	v_mov_b32_e32 v5, v7
	v_mad_co_u64_u32 v[10:11], null, s18, v184, 0
	v_lshlrev_b64_e32 v[8:9], 4, v[8:9]
	v_mad_co_u64_u32 v[15:16], null, s19, v182, v[3:4]
	v_mov_b32_e32 v3, v12
	v_add_nc_u32_e32 v189, 0x195, v198
	v_add_nc_u32_e32 v65, 0x46e, v198
	v_mov_b32_e32 v7, v11
	v_mad_co_u64_u32 v[11:12], null, s19, v183, v[5:6]
	v_dual_mov_b32 v5, v15 :: v_dual_add_nc_u32 v12, 0x4bf, v198
	s_delay_alu instid0(VALU_DEP_3) | instskip(SKIP_4) | instid1(VALU_DEP_3)
	v_mad_co_u64_u32 v[16:17], null, s19, v184, v[7:8]
	v_add_co_u32 v7, s0, s4, v8
	s_wait_alu 0xf1ff
	v_add_co_ci_u32_e64 v8, s0, s5, v9, s0
	v_lshlrev_b64_e32 v[2:3], 4, v[2:3]
	v_add_co_u32 v22, s0, v7, v0
	v_mov_b32_e32 v7, v11
	s_wait_alu 0xf1ff
	v_add_co_ci_u32_e64 v23, s0, v8, v1, s0
	v_lshlrev_b64_e32 v[0:1], 4, v[4:5]
	v_dual_mov_b32 v11, v16 :: v_dual_add_nc_u32 v28, 0x6a5, v198
	v_lshlrev_b64_e32 v[5:6], 4, v[6:7]
	v_add_co_u32 v2, s0, v22, v2
	v_mov_b32_e32 v4, v14
	v_mad_co_u64_u32 v[15:16], null, s18, v12, 0
	s_wait_alu 0xf1ff
	v_add_co_ci_u32_e64 v3, s0, v23, v3, s0
	v_add_co_u32 v0, s0, v22, v0
	v_lshlrev_b64_e32 v[7:8], 4, v[10:11]
	s_wait_alu 0xf1ff
	v_add_co_ci_u32_e64 v1, s0, v23, v1, s0
	v_mad_co_u64_u32 v[9:10], null, s19, v18, v[4:5]
	v_add_co_u32 v10, s0, v22, v5
	s_wait_alu 0xf1ff
	v_add_co_ci_u32_e64 v11, s0, v23, v6, s0
	v_mov_b32_e32 v4, v16
	v_add_co_u32 v17, s0, v22, v7
	s_wait_alu 0xf1ff
	v_add_co_ci_u32_e64 v18, s0, v23, v8, s0
	v_mov_b32_e32 v14, v9
	v_mad_co_u64_u32 v[24:25], null, s19, v12, v[4:5]
	s_clause 0x3
	global_load_b128 v[4:7], v[2:3], off
	global_load_b128 v[0:3], v[0:1], off
	;; [unrolled: 1-line block ×4, first 2 shown]
	v_add_nc_u32_e32 v71, 0x654, v198
	v_lshlrev_b64_e32 v[12:13], 4, v[13:14]
	v_mov_b32_e32 v14, v20
	v_add_nc_u32_e32 v188, 0xa2, v198
	v_add_nc_u32_e32 v190, 0x288, v198
	v_mov_b32_e32 v16, v24
	v_mad_co_u64_u32 v[24:25], null, s18, v28, 0
	v_mad_co_u64_u32 v[17:18], null, s19, v21, v[14:15]
	v_add_nc_u32_e32 v21, 0x798, v198
	s_delay_alu instid0(VALU_DEP_4)
	v_lshlrev_b64_e32 v[14:15], 4, v[15:16]
	v_add_co_u32 v12, s0, v22, v12
	s_wait_alu 0xf1ff
	v_add_co_ci_u32_e64 v13, s0, v23, v13, s0
	v_mad_co_u64_u32 v[26:27], null, s18, v21, 0
	v_mov_b32_e32 v16, v25
	v_mov_b32_e32 v20, v17
	v_add_co_u32 v14, s0, v22, v14
	s_wait_alu 0xf1ff
	v_add_co_ci_u32_e64 v15, s0, v23, v15, s0
	v_mad_co_u64_u32 v[16:17], null, s19, v28, v[16:17]
	v_mad_co_u64_u32 v[67:68], null, s18, v71, 0
	s_clause 0x1
	global_load_b128 v[116:119], v[12:13], off
	global_load_b128 v[112:115], v[14:15], off
	v_dual_mov_b32 v25, v16 :: v_dual_add_nc_u32 v72, 0x83a, v198
	v_lshlrev_b64_e32 v[17:18], 4, v[19:20]
	v_mov_b32_e32 v19, v27
	s_delay_alu instid0(VALU_DEP_1) | instskip(SKIP_1) | instid1(VALU_DEP_4)
	v_mad_co_u64_u32 v[19:20], null, s19, v21, v[19:20]
	v_add_nc_u32_e32 v30, 0x88b, v198
	v_add_co_u32 v16, s0, v22, v17
	v_lshlrev_b64_e32 v[20:21], 4, v[24:25]
	s_wait_alu 0xf1ff
	v_add_co_ci_u32_e64 v17, s0, v23, v18, s0
	v_mov_b32_e32 v27, v19
	v_mad_co_u64_u32 v[28:29], null, s18, v30, 0
	s_delay_alu instid0(VALU_DEP_1) | instskip(NEXT) | instid1(VALU_DEP_1)
	v_dual_mov_b32 v18, v29 :: v_dual_add_nc_u32 v185, 0x51, v198
	v_mad_co_u64_u32 v[24:25], null, s18, v185, 0
	s_delay_alu instid0(VALU_DEP_2)
	v_mad_co_u64_u32 v[29:30], null, s19, v30, v[18:19]
	v_add_co_u32 v18, s0, v22, v20
	s_wait_alu 0xf1ff
	v_add_co_ci_u32_e64 v19, s0, v23, v21, s0
	v_lshlrev_b64_e32 v[20:21], 4, v[26:27]
	v_mad_co_u64_u32 v[26:27], null, s18, v186, 0
	v_lshlrev_b64_e32 v[28:29], 4, v[28:29]
	s_clause 0x1
	global_load_b128 v[108:111], v[16:17], off
	global_load_b128 v[104:107], v[18:19], off
	v_add_co_u32 v20, s0, v22, v20
	s_wait_alu 0xf1ff
	v_add_co_ci_u32_e64 v21, s0, v23, v21, s0
	v_mad_co_u64_u32 v[30:31], null, s19, v185, v[25:26]
	s_delay_alu instid0(VALU_DEP_1) | instskip(SKIP_3) | instid1(VALU_DEP_4)
	v_mov_b32_e32 v25, v30
	v_mad_co_u64_u32 v[32:33], null, s19, v186, v[27:28]
	v_add_nc_u32_e32 v40, 0x32a, v198
	v_mad_co_u64_u32 v[30:31], null, s18, v187, 0
	v_lshlrev_b64_e32 v[24:25], 4, v[24:25]
	v_add_co_u32 v28, s0, v22, v28
	v_mov_b32_e32 v27, v32
	v_mad_co_u64_u32 v[32:33], null, s18, v40, 0
	s_wait_alu 0xf1ff
	v_add_co_ci_u32_e64 v29, s0, v23, v29, s0
	s_delay_alu instid0(VALU_DEP_3)
	v_lshlrev_b64_e32 v[26:27], 4, v[26:27]
	v_add_co_u32 v24, s0, v22, v24
	s_wait_alu 0xf1ff
	v_add_co_ci_u32_e64 v25, s0, v23, v25, s0
	v_mad_co_u64_u32 v[34:35], null, s19, v187, v[31:32]
	v_add_nc_u32_e32 v42, 0x41d, v198
	v_add_co_u32 v26, s0, v22, v26
	s_wait_alu 0xf1ff
	v_add_co_ci_u32_e64 v27, s0, v23, v27, s0
	s_delay_alu instid0(VALU_DEP_4) | instskip(SKIP_1) | instid1(VALU_DEP_2)
	v_mov_b32_e32 v31, v34
	v_mad_co_u64_u32 v[34:35], null, s18, v42, 0
	v_lshlrev_b64_e32 v[30:31], 4, v[30:31]
	s_delay_alu instid0(VALU_DEP_2) | instskip(NEXT) | instid1(VALU_DEP_1)
	v_mad_co_u64_u32 v[40:41], null, s19, v40, v[33:34]
	v_mov_b32_e32 v33, v40
	v_mad_co_u64_u32 v[40:41], null, s18, v47, 0
	s_wait_loadcnt 0x5
	v_mad_co_u64_u32 v[42:43], null, s19, v42, v[35:36]
	v_add_co_u32 v43, s0, v22, v30
	s_wait_alu 0xf1ff
	v_add_co_ci_u32_e64 v44, s0, v23, v31, s0
	s_delay_alu instid0(VALU_DEP_3) | instskip(SKIP_2) | instid1(VALU_DEP_1)
	v_dual_mov_b32 v35, v42 :: v_dual_add_nc_u32 v42, 0x6f6, v198
	v_lshlrev_b64_e32 v[30:31], 4, v[32:33]
	v_mov_b32_e32 v32, v41
	v_mad_co_u64_u32 v[32:33], null, s19, v47, v[32:33]
	s_delay_alu instid0(VALU_DEP_3) | instskip(SKIP_1) | instid1(VALU_DEP_4)
	v_add_co_u32 v47, s0, v22, v30
	s_wait_alu 0xf1ff
	v_add_co_ci_u32_e64 v48, s0, v23, v31, s0
	v_lshlrev_b64_e32 v[30:31], 4, v[34:35]
	v_mad_co_u64_u32 v[34:35], null, s18, v42, 0
	v_mov_b32_e32 v33, v46
	v_mov_b32_e32 v41, v32
	s_delay_alu instid0(VALU_DEP_2)
	v_mad_co_u64_u32 v[32:33], null, s19, v49, v[33:34]
	v_add_co_u32 v49, s0, v22, v30
	v_mov_b32_e32 v33, v35
	s_wait_alu 0xf1ff
	v_add_co_ci_u32_e64 v50, s0, v23, v31, s0
	v_lshlrev_b64_e32 v[30:31], 4, v[40:41]
	v_mad_co_u64_u32 v[40:41], null, s18, v53, 0
	v_mov_b32_e32 v46, v32
	v_mad_co_u64_u32 v[32:33], null, s19, v42, v[33:34]
	s_delay_alu instid0(VALU_DEP_4)
	v_add_co_u32 v51, s0, v22, v30
	v_add_nc_u32_e32 v42, 0x8dc, v198
	s_wait_alu 0xf1ff
	v_add_co_ci_u32_e64 v52, s0, v23, v31, s0
	v_lshlrev_b64_e32 v[30:31], 4, v[45:46]
	v_mov_b32_e32 v33, v41
	v_mov_b32_e32 v35, v32
	v_mad_co_u64_u32 v[45:46], null, s18, v42, 0
	s_delay_alu instid0(VALU_DEP_3)
	v_mad_co_u64_u32 v[32:33], null, s19, v53, v[33:34]
	v_add_co_u32 v53, s0, v22, v30
	s_wait_alu 0xf1ff
	v_add_co_ci_u32_e64 v54, s0, v23, v31, s0
	v_lshlrev_b64_e32 v[30:31], 4, v[34:35]
	v_mad_co_u64_u32 v[34:35], null, s18, v188, 0
	v_mov_b32_e32 v33, v46
	v_mov_b32_e32 v41, v32
	s_delay_alu instid0(VALU_DEP_4)
	v_add_co_u32 v55, s0, v22, v30
	s_wait_alu 0xf1ff
	v_add_co_ci_u32_e64 v56, s0, v23, v31, s0
	v_mad_co_u64_u32 v[32:33], null, s19, v42, v[33:34]
	v_mov_b32_e32 v33, v35
	v_lshlrev_b64_e32 v[30:31], 4, v[40:41]
	v_mad_co_u64_u32 v[40:41], null, s18, v189, 0
	v_add_nc_u32_e32 v42, 0x37b, v198
	v_mov_b32_e32 v46, v32
	v_mad_co_u64_u32 v[32:33], null, s19, v188, v[33:34]
	v_add_co_u32 v57, s0, v22, v30
	s_wait_alu 0xf1ff
	v_add_co_ci_u32_e64 v58, s0, v23, v31, s0
	v_lshlrev_b64_e32 v[30:31], 4, v[45:46]
	v_mov_b32_e32 v33, v41
	v_mov_b32_e32 v35, v32
	v_mad_co_u64_u32 v[45:46], null, s18, v190, 0
	s_delay_alu instid0(VALU_DEP_4) | instskip(NEXT) | instid1(VALU_DEP_4)
	v_add_co_u32 v59, s0, v22, v30
	v_mad_co_u64_u32 v[32:33], null, s19, v189, v[33:34]
	s_wait_alu 0xf1ff
	v_add_co_ci_u32_e64 v60, s0, v23, v31, s0
	v_lshlrev_b64_e32 v[30:31], 4, v[34:35]
	v_mad_co_u64_u32 v[34:35], null, s18, v42, 0
	v_mov_b32_e32 v33, v46
	v_mov_b32_e32 v41, v32
	s_delay_alu instid0(VALU_DEP_4)
	v_add_co_u32 v61, s0, v22, v30
	s_wait_alu 0xf1ff
	v_add_co_ci_u32_e64 v62, s0, v23, v31, s0
	v_mad_co_u64_u32 v[32:33], null, s19, v190, v[33:34]
	v_mov_b32_e32 v33, v35
	v_lshlrev_b64_e32 v[30:31], 4, v[40:41]
	v_mad_co_u64_u32 v[40:41], null, s18, v65, 0
	s_delay_alu instid0(VALU_DEP_4) | instskip(NEXT) | instid1(VALU_DEP_4)
	v_mov_b32_e32 v46, v32
	v_mad_co_u64_u32 v[32:33], null, s19, v42, v[33:34]
	v_add_nc_u32_e32 v42, 0x561, v198
	v_add_co_u32 v63, s0, v22, v30
	s_wait_alu 0xf1ff
	v_add_co_ci_u32_e64 v64, s0, v23, v31, s0
	v_lshlrev_b64_e32 v[30:31], 4, v[45:46]
	v_mov_b32_e32 v33, v41
	v_mad_co_u64_u32 v[45:46], null, s18, v42, 0
	v_mov_b32_e32 v35, v32
	s_delay_alu instid0(VALU_DEP_3) | instskip(SKIP_1) | instid1(VALU_DEP_3)
	v_mad_co_u64_u32 v[32:33], null, s19, v65, v[33:34]
	v_add_co_u32 v65, s0, v22, v30
	v_lshlrev_b64_e32 v[33:34], 4, v[34:35]
	v_mov_b32_e32 v30, v46
	s_wait_alu 0xf1ff
	v_add_co_ci_u32_e64 v66, s0, v23, v31, s0
	v_mov_b32_e32 v41, v32
	s_delay_alu instid0(VALU_DEP_4)
	v_add_co_u32 v69, s0, v22, v33
	v_mov_b32_e32 v33, v68
	v_mad_co_u64_u32 v[30:31], null, s19, v42, v[30:31]
	v_add_nc_u32_e32 v42, 0x747, v198
	s_wait_alu 0xf1ff
	v_add_co_ci_u32_e64 v70, s0, v23, v34, s0
	v_mad_co_u64_u32 v[33:34], null, s19, v71, v[33:34]
	v_lshlrev_b64_e32 v[31:32], 4, v[40:41]
	v_mad_co_u64_u32 v[34:35], null, s18, v42, 0
	v_mad_co_u64_u32 v[40:41], null, s18, v72, 0
	v_mov_b32_e32 v46, v30
	v_dual_mov_b32 v68, v33 :: v_dual_add_nc_u32 v71, 0x92d, v198
	v_add_co_u32 v120, s0, v22, v31
	s_wait_alu 0xf1ff
	v_add_co_ci_u32_e64 v121, s0, v23, v32, s0
	v_lshlrev_b64_e32 v[30:31], 4, v[45:46]
	v_dual_mov_b32 v32, v35 :: v_dual_mov_b32 v33, v41
	v_mad_co_u64_u32 v[45:46], null, s18, v71, 0
	s_delay_alu instid0(VALU_DEP_3) | instskip(NEXT) | instid1(VALU_DEP_3)
	v_add_co_u32 v122, s0, v22, v30
	v_mad_co_u64_u32 v[41:42], null, s19, v42, v[32:33]
	v_mad_co_u64_u32 v[32:33], null, s19, v72, v[33:34]
	s_delay_alu instid0(VALU_DEP_4)
	v_mov_b32_e32 v33, v46
	s_wait_alu 0xf1ff
	v_add_co_ci_u32_e64 v123, s0, v23, v31, s0
	v_lshlrev_b64_e32 v[30:31], 4, v[67:68]
	v_mov_b32_e32 v35, v41
	v_mad_co_u64_u32 v[12:13], null, s19, v71, v[33:34]
	v_mov_b32_e32 v41, v32
	s_delay_alu instid0(VALU_DEP_4)
	v_add_co_u32 v13, s0, v22, v30
	s_wait_alu 0xf1ff
	v_add_co_ci_u32_e64 v14, s0, v23, v31, s0
	v_lshlrev_b64_e32 v[30:31], 4, v[34:35]
	v_mov_b32_e32 v46, v12
	v_lshlrev_b64_e32 v[15:16], 4, v[40:41]
	s_delay_alu instid0(VALU_DEP_3) | instskip(SKIP_1) | instid1(VALU_DEP_4)
	v_add_co_u32 v17, s0, v22, v30
	s_wait_alu 0xf1ff
	v_add_co_ci_u32_e64 v18, s0, v23, v31, s0
	v_lshlrev_b64_e32 v[30:31], 4, v[45:46]
	s_delay_alu instid0(VALU_DEP_4) | instskip(SKIP_2) | instid1(VALU_DEP_3)
	v_add_co_u32 v15, s0, v22, v15
	s_wait_alu 0xf1ff
	v_add_co_ci_u32_e64 v16, s0, v23, v16, s0
	v_add_co_u32 v124, s0, v22, v30
	s_wait_alu 0xf1ff
	v_add_co_ci_u32_e64 v125, s0, v23, v31, s0
	s_clause 0x15
	global_load_b128 v[32:35], v[20:21], off
	global_load_b128 v[28:31], v[28:29], off
	;; [unrolled: 1-line block ×22, first 2 shown]
.LBB0_13:
	s_or_b32 exec_lo, exec_lo, s1
	v_add_f64_e32 v[134:135], v[36:37], v[4:5]
	v_add_f64_e32 v[136:137], v[38:39], v[6:7]
	s_wait_loadcnt 0x16
	v_add_f64_e32 v[148:149], v[106:107], v[114:115]
	v_add_f64_e32 v[138:139], v[8:9], v[0:1]
	;; [unrolled: 1-line block ×3, first 2 shown]
	s_wait_loadcnt 0x11
	v_add_f64_e32 v[142:143], v[96:97], v[100:101]
	v_add_f64_e32 v[144:145], v[98:99], v[102:103]
	;; [unrolled: 1-line block ×6, first 2 shown]
	v_add_f64_e64 v[130:131], v[38:39], -v[34:35]
	v_add_f64_e64 v[164:165], v[36:37], -v[116:117]
	;; [unrolled: 1-line block ×7, first 2 shown]
	v_add_f64_e32 v[172:173], v[104:105], v[112:113]
	v_add_f64_e64 v[195:196], v[8:9], -v[28:29]
	v_add_f64_e32 v[174:175], v[28:29], v[8:9]
	v_add_f64_e64 v[178:179], v[8:9], -v[112:113]
	v_add_f64_e64 v[180:181], v[112:113], -v[8:9]
	s_wait_loadcnt 0xd
	v_add_f64_e32 v[191:192], v[84:85], v[92:93]
	s_wait_loadcnt 0xb
	v_add_f64_e32 v[193:194], v[24:25], v[96:97]
	s_mov_b32 s10, 0x134454ff
	s_mov_b32 s11, 0xbfee6f0e
	;; [unrolled: 1-line block ×3, first 2 shown]
	s_wait_alu 0xfffe
	s_mov_b32 s0, s10
	v_add_f64_e32 v[156:157], v[32:33], v[36:37]
	v_add_f64_e64 v[168:169], v[32:33], -v[108:109]
	v_add_f64_e64 v[170:171], v[108:109], -v[32:33]
	;; [unrolled: 1-line block ×7, first 2 shown]
	v_add_f64_e32 v[201:202], v[48:49], v[76:77]
	v_add_f64_e32 v[116:117], v[116:117], v[134:135]
	;; [unrolled: 1-line block ×3, first 2 shown]
	v_fma_f64 v[148:149], v[148:149], -0.5, v[2:3]
	v_add_f64_e32 v[134:135], v[112:113], v[138:139]
	v_add_f64_e32 v[136:137], v[114:115], v[140:141]
	v_add_f64_e32 v[138:139], v[92:93], v[142:143]
	v_add_f64_e32 v[140:141], v[94:95], v[144:145]
	v_add_f64_e64 v[112:113], v[112:113], -v[104:105]
	v_fma_f64 v[152:153], v[152:153], -0.5, v[2:3]
	v_add_f64_e32 v[142:143], v[86:87], v[94:95]
	v_add_f64_e32 v[144:145], v[26:27], v[98:99]
	s_wait_loadcnt 0xa
	v_add_f64_e32 v[203:204], v[20:21], v[80:81]
	v_add_f64_e32 v[205:206], v[50:51], v[78:79]
	v_add_f64_e64 v[213:214], v[114:115], -v[10:11]
	v_add_f64_e64 v[114:115], v[114:115], -v[106:107]
	;; [unrolled: 1-line block ×5, first 2 shown]
	v_fma_f64 v[172:173], v[172:173], -0.5, v[0:1]
	v_fma_f64 v[158:159], v[158:159], -0.5, v[6:7]
	;; [unrolled: 1-line block ×4, first 2 shown]
	s_mov_b32 s14, 0x4755a5e
	v_fma_f64 v[6:7], v[191:192], -0.5, v[100:101]
	v_fma_f64 v[0:1], v[193:194], -0.5, v[100:101]
	s_mov_b32 s15, 0xbfe2cf23
	s_mov_b32 s5, 0x3fe2cf23
	;; [unrolled: 1-line block ×3, first 2 shown]
	v_add_f64_e32 v[146:147], v[80:81], v[88:89]
	v_add_f64_e32 v[150:151], v[82:83], v[90:91]
	v_fma_f64 v[154:155], v[154:155], -0.5, v[4:5]
	v_fma_f64 v[156:157], v[156:157], -0.5, v[4:5]
	s_wait_loadcnt 0x7
	v_add_f64_e32 v[207:208], v[64:65], v[72:73]
	v_add_f64_e32 v[209:210], v[66:67], v[74:75]
	;; [unrolled: 1-line block ×4, first 2 shown]
	s_wait_loadcnt 0x3
	v_add_f64_e32 v[193:194], v[44:45], v[68:69]
	v_add_f64_e32 v[227:228], v[52:53], v[60:61]
	;; [unrolled: 1-line block ×4, first 2 shown]
	s_wait_alu 0xfffe
	v_fma_f64 v[118:119], v[195:196], s[0:1], v[148:149]
	v_add_f64_e32 v[110:111], v[104:105], v[134:135]
	v_add_f64_e32 v[229:230], v[54:55], v[62:63]
	;; [unrolled: 1-line block ×4, first 2 shown]
	v_fma_f64 v[138:139], v[195:196], s[10:11], v[148:149]
	v_fma_f64 v[134:135], v[112:113], s[10:11], v[152:153]
	;; [unrolled: 1-line block ×3, first 2 shown]
	v_fma_f64 v[4:5], v[142:143], -0.5, v[102:103]
	v_fma_f64 v[102:103], v[144:145], -0.5, v[102:103]
	;; [unrolled: 1-line block ×5, first 2 shown]
	s_wait_loadcnt 0x1
	v_add_f64_e32 v[201:202], v[12:13], v[64:65]
	v_add_f64_e32 v[203:204], v[46:47], v[70:71]
	;; [unrolled: 1-line block ×3, first 2 shown]
	v_fma_f64 v[231:232], v[176:177], s[10:11], v[172:173]
	v_fma_f64 v[172:173], v[176:177], s[0:1], v[172:173]
	v_add_f64_e32 v[213:214], v[221:222], v[213:214]
	v_fma_f64 v[233:234], v[114:115], s[0:1], v[174:175]
	v_fma_f64 v[174:175], v[114:115], s[10:11], v[174:175]
	s_wait_loadcnt 0x0
	v_add_f64_e32 v[219:220], v[16:17], v[52:53]
	v_add_f64_e32 v[221:222], v[42:43], v[58:59]
	;; [unrolled: 1-line block ×3, first 2 shown]
	s_mov_b32 s12, 0x372fe950
	s_mov_b32 s13, 0x3fd3c6ef
	v_add_f64_e32 v[146:147], v[76:77], v[146:147]
	v_add_f64_e32 v[150:151], v[78:79], v[150:151]
	;; [unrolled: 1-line block ×4, first 2 shown]
	v_fma_f64 v[217:218], v[132:133], s[0:1], v[156:157]
	v_fma_f64 v[156:157], v[132:133], s[10:11], v[156:157]
	v_add_f64_e64 v[36:37], v[36:37], -v[32:33]
	v_add_f64_e32 v[152:153], v[68:69], v[207:208]
	v_add_f64_e32 v[191:192], v[70:71], v[209:210]
	v_fma_f64 v[90:91], v[211:212], -0.5, v[90:91]
	v_add_f64_e64 v[211:212], v[80:81], -v[76:77]
	v_add_f64_e64 v[223:224], v[76:77], -v[80:81]
	v_fma_f64 v[118:119], v[112:113], s[4:5], v[118:119]
	v_add_f64_e64 v[225:226], v[82:83], -v[78:79]
	v_fma_f64 v[193:194], v[193:194], -0.5, v[72:73]
	v_add_f64_e64 v[215:216], v[48:49], -v[20:21]
	v_add_f64_e32 v[227:228], v[56:57], v[227:228]
	v_fma_f64 v[112:113], v[112:113], s[14:15], v[138:139]
	v_fma_f64 v[134:135], v[195:196], s[4:5], v[134:135]
	;; [unrolled: 1-line block ×3, first 2 shown]
	v_add_f64_e32 v[195:196], v[40:41], v[56:57]
	v_add_f64_e32 v[229:230], v[58:59], v[229:230]
	v_add_f64_e64 v[80:81], v[80:81], -v[20:21]
	v_add_f64_e64 v[209:210], v[82:83], -v[22:23]
	;; [unrolled: 1-line block ×3, first 2 shown]
	v_fma_f64 v[72:73], v[201:202], -0.5, v[72:73]
	v_fma_f64 v[201:202], v[203:204], -0.5, v[74:75]
	v_fma_f64 v[74:75], v[205:206], -0.5, v[74:75]
	v_fma_f64 v[231:232], v[114:115], s[14:15], v[231:232]
	v_fma_f64 v[114:115], v[114:115], s[4:5], v[172:173]
	;; [unrolled: 1-line block ×4, first 2 shown]
	v_add_f64_e64 v[205:206], v[20:21], -v[48:49]
	v_fma_f64 v[233:234], v[176:177], s[14:15], v[233:234]
	v_fma_f64 v[174:175], v[176:177], s[4:5], v[174:175]
	v_add_f64_e64 v[78:79], v[78:79], -v[50:51]
	v_add_f64_e64 v[76:77], v[76:77], -v[48:49]
	v_add_f64_e32 v[164:165], v[168:169], v[164:165]
	v_add_f64_e64 v[168:169], v[50:51], -v[22:23]
	v_add_f64_e32 v[48:49], v[48:49], v[146:147]
	v_add_f64_e32 v[166:167], v[170:171], v[166:167]
	v_add_f64_e64 v[140:141], v[70:71], -v[46:47]
	v_add_f64_e64 v[237:238], v[64:65], -v[68:69]
	;; [unrolled: 1-line block ×6, first 2 shown]
	v_add_f64_e32 v[122:123], v[128:129], v[122:123]
	v_add_f64_e64 v[128:129], v[46:47], -v[14:15]
	v_add_f64_e32 v[120:121], v[124:125], v[120:121]
	v_fma_f64 v[118:119], v[199:200], s[12:13], v[118:119]
	v_add_f64_e64 v[124:125], v[16:17], -v[40:41]
	s_mov_b32 s18, 0x9b97f4a8
	v_add_f64_e32 v[215:216], v[215:216], v[223:224]
	v_add_f64_e64 v[223:224], v[18:19], -v[42:43]
	v_fma_f64 v[112:113], v[199:200], s[12:13], v[112:113]
	v_fma_f64 v[134:135], v[213:214], s[12:13], v[134:135]
	v_fma_f64 v[138:139], v[213:214], s[12:13], v[138:139]
	v_fma_f64 v[195:196], v[195:196], -0.5, v[60:61]
	v_fma_f64 v[60:61], v[219:220], -0.5, v[60:61]
	;; [unrolled: 1-line block ×4, first 2 shown]
	v_add_f64_e64 v[235:236], v[22:23], -v[50:51]
	v_add_f64_e32 v[50:51], v[50:51], v[150:151]
	v_fma_f64 v[150:151], v[130:131], s[14:15], v[217:218]
	v_add_f64_e64 v[199:200], v[52:53], -v[56:57]
	v_add_f64_e64 v[213:214], v[56:57], -v[52:53]
	v_add_f64_e64 v[52:53], v[52:53], -v[16:17]
	v_fma_f64 v[146:147], v[132:133], s[14:15], v[172:173]
	v_fma_f64 v[172:173], v[178:179], s[12:13], v[231:232]
	v_add_f64_e64 v[56:57], v[56:57], -v[40:41]
	v_fma_f64 v[132:133], v[132:133], s[4:5], v[154:155]
	v_fma_f64 v[130:131], v[130:131], s[4:5], v[156:157]
	v_add_f64_e64 v[221:222], v[54:55], -v[58:59]
	v_add_f64_e64 v[58:59], v[58:59], -v[54:55]
	;; [unrolled: 1-line block ×3, first 2 shown]
	v_fma_f64 v[231:232], v[180:181], s[12:13], v[233:234]
	v_add_f64_e64 v[154:155], v[44:45], -v[12:13]
	v_add_f64_e64 v[156:157], v[14:15], -v[46:47]
	v_fma_f64 v[114:115], v[178:179], s[12:13], v[114:115]
	v_fma_f64 v[174:175], v[180:181], s[12:13], v[174:175]
	v_add_f64_e32 v[205:206], v[205:206], v[211:212]
	v_add_f64_e64 v[211:212], v[40:41], -v[16:17]
	v_add_f64_e32 v[44:45], v[44:45], v[152:153]
	v_add_f64_e32 v[46:47], v[46:47], v[191:192]
	;; [unrolled: 1-line block ×3, first 2 shown]
	v_fma_f64 v[152:153], v[36:37], s[0:1], v[158:159]
	v_fma_f64 v[158:159], v[36:37], s[10:11], v[158:159]
	v_mul_f64_e32 v[217:218], s[14:15], v[118:119]
	v_fma_f64 v[191:192], v[38:39], s[10:11], v[162:163]
	s_mov_b32 s19, 0x3fe9e377
	v_fma_f64 v[227:228], v[80:81], s[0:1], v[148:149]
	v_add_f64_e32 v[32:33], v[32:33], v[116:117]
	v_mul_f64_e32 v[180:181], s[14:15], v[112:113]
	v_mul_f64_e32 v[233:234], s[10:11], v[134:135]
	;; [unrolled: 1-line block ×3, first 2 shown]
	v_add_f64_e32 v[28:29], v[28:29], v[110:111]
	v_fma_f64 v[148:149], v[80:81], s[10:11], v[148:149]
	v_add_f64_e32 v[34:35], v[34:35], v[108:109]
	v_add_f64_e32 v[82:83], v[168:169], v[82:83]
	;; [unrolled: 1-line block ×3, first 2 shown]
	v_add_f64_e64 v[235:236], v[42:43], -v[18:19]
	v_add_f64_e32 v[42:43], v[42:43], v[229:230]
	s_mov_b32 s23, 0xbfd3c6ef
	s_mov_b32 s21, 0xbfe9e377
	v_fma_f64 v[108:109], v[52:53], s[0:1], v[219:220]
	v_fma_f64 v[110:111], v[164:165], s[12:13], v[146:147]
	;; [unrolled: 1-line block ×10, first 2 shown]
	s_mov_b32 s22, s12
	s_wait_alu 0xfffe
	s_mov_b32 s20, s18
	v_add_f64_e64 v[2:3], v[98:99], -v[26:27]
	v_add_f64_e64 v[10:11], v[96:97], -v[92:93]
	;; [unrolled: 1-line block ×3, first 2 shown]
	v_add_f64_e32 v[106:107], v[106:107], v[136:137]
	v_add_f64_e64 v[96:97], v[96:97], -v[24:25]
	v_add_f64_e64 v[136:137], v[98:99], -v[94:95]
	;; [unrolled: 1-line block ×5, first 2 shown]
	v_fma_f64 v[116:117], v[172:173], s[18:19], v[217:218]
	v_fma_f64 v[217:218], v[76:77], s[10:11], v[90:91]
	;; [unrolled: 1-line block ×3, first 2 shown]
	v_add_f64_e64 v[142:143], v[24:25], -v[84:85]
	v_fma_f64 v[162:163], v[38:39], s[0:1], v[162:163]
	v_fma_f64 v[180:181], v[114:115], s[20:21], v[180:181]
	;; [unrolled: 1-line block ×6, first 2 shown]
	v_add_f64_e32 v[249:250], v[16:17], v[40:41]
	v_fma_f64 v[40:41], v[38:39], s[4:5], v[152:153]
	v_fma_f64 v[38:39], v[38:39], s[14:15], v[158:159]
	v_add_f64_e64 v[64:65], v[64:65], -v[12:13]
	v_add_f64_e32 v[251:252], v[18:19], v[42:43]
	v_fma_f64 v[42:43], v[36:37], s[4:5], v[191:192]
	v_add_f64_e32 v[245:246], v[12:13], v[44:45]
	v_add_f64_e32 v[12:13], v[28:29], v[32:33]
	v_add_f64_e64 v[18:19], v[32:33], -v[28:29]
	v_fma_f64 v[32:33], v[76:77], s[4:5], v[227:228]
	v_fma_f64 v[88:89], v[78:79], s[10:11], v[88:89]
	v_add_f64_e32 v[243:244], v[22:23], v[50:51]
	v_add_f64_e32 v[247:248], v[14:15], v[46:47]
	v_fma_f64 v[144:145], v[209:210], s[0:1], v[144:145]
	v_fma_f64 v[76:77], v[76:77], s[14:15], v[148:149]
	v_add_f64_e64 v[84:85], v[84:85], -v[24:25]
	v_add_f64_e64 v[203:204], v[66:67], -v[70:71]
	;; [unrolled: 1-line block ×4, first 2 shown]
	v_add_f64_e32 v[241:242], v[20:21], v[48:49]
	v_fma_f64 v[108:109], v[56:57], s[4:5], v[108:109]
	v_add_f64_e32 v[58:59], v[235:236], v[58:59]
	v_fma_f64 v[60:61], v[176:177], s[10:11], v[60:61]
	v_fma_f64 v[56:57], v[56:57], s[14:15], v[219:220]
	;; [unrolled: 1-line block ×4, first 2 shown]
	v_add_f64_e64 v[207:208], v[26:27], -v[86:87]
	v_add_f64_e64 v[86:87], v[86:87], -v[26:27]
	v_add_f64_e32 v[14:15], v[110:111], v[116:117]
	v_fma_f64 v[46:47], v[80:81], s[4:5], v[217:218]
	v_fma_f64 v[50:51], v[80:81], s[14:15], v[90:91]
	v_add_f64_e64 v[20:21], v[110:111], -v[116:117]
	v_add_f64_e32 v[110:111], v[223:224], v[221:222]
	v_fma_f64 v[116:117], v[52:53], s[4:5], v[168:169]
	v_fma_f64 v[52:53], v[52:53], s[14:15], v[62:63]
	;; [unrolled: 1-line block ×3, first 2 shown]
	v_add_f64_e32 v[106:107], v[30:31], v[106:107]
	v_add_f64_e32 v[100:101], v[24:25], v[100:101]
	;; [unrolled: 1-line block ×3, first 2 shown]
	v_add_f64_e64 v[22:23], v[146:147], -v[150:151]
	v_add_f64_e32 v[24:25], v[146:147], v[150:151]
	v_add_f64_e32 v[26:27], v[130:131], v[178:179]
	;; [unrolled: 1-line block ×3, first 2 shown]
	v_add_f64_e64 v[28:29], v[130:131], -v[178:179]
	v_add_f64_e64 v[30:31], v[132:133], -v[180:181]
	v_fma_f64 v[80:81], v[2:3], s[10:11], v[6:7]
	v_fma_f64 v[6:7], v[2:3], s[0:1], v[6:7]
	v_add_f64_e32 v[90:91], v[124:125], v[199:200]
	v_fma_f64 v[124:125], v[94:95], s[0:1], v[0:1]
	v_fma_f64 v[130:131], v[176:177], s[14:15], v[229:230]
	v_add_f64_e32 v[132:133], v[211:212], v[213:214]
	;; [unrolled: 3-line block ×3, first 2 shown]
	v_fma_f64 v[142:143], v[96:97], s[0:1], v[4:5]
	v_fma_f64 v[148:149], v[122:123], s[12:13], v[40:41]
	;; [unrolled: 1-line block ×16, first 2 shown]
	v_add_f64_e32 v[8:9], v[84:85], v[8:9]
	v_fma_f64 v[84:85], v[110:111], s[12:13], v[108:109]
	v_fma_f64 v[150:151], v[66:67], s[0:1], v[193:194]
	;; [unrolled: 1-line block ×10, first 2 shown]
	v_mul_f64_e32 v[102:103], s[4:5], v[172:173]
	v_mul_f64_e32 v[82:83], s[0:1], v[231:232]
	v_fma_f64 v[80:81], v[94:95], s[14:15], v[80:81]
	v_fma_f64 v[6:7], v[94:95], s[4:5], v[6:7]
	;; [unrolled: 1-line block ×8, first 2 shown]
	v_mul_f64_e32 v[112:113], s[20:21], v[112:113]
	v_fma_f64 v[116:117], v[92:93], s[4:5], v[142:143]
	v_add_f64_e32 v[86:87], v[86:87], v[98:99]
	v_fma_f64 v[4:5], v[92:93], s[14:15], v[4:5]
	v_fma_f64 v[92:93], v[64:65], s[0:1], v[201:202]
	;; [unrolled: 1-line block ×3, first 2 shown]
	v_add_f64_e32 v[2:3], v[207:208], v[136:137]
	v_fma_f64 v[42:43], v[96:97], s[14:15], v[42:43]
	v_fma_f64 v[96:97], v[64:65], s[10:11], v[201:202]
	v_mul_f64_e32 v[98:99], s[14:15], v[32:33]
	v_fma_f64 v[88:89], v[215:216], s[12:13], v[88:89]
	v_fma_f64 v[78:79], v[205:206], s[12:13], v[78:79]
	v_mul_f64_e32 v[158:159], s[14:15], v[76:77]
	v_mul_f64_e32 v[138:139], s[22:23], v[138:139]
	;; [unrolled: 1-line block ×4, first 2 shown]
	v_add_f64_e32 v[146:147], v[170:171], v[237:238]
	v_fma_f64 v[144:145], v[140:141], s[14:15], v[144:145]
	v_fma_f64 v[152:153], v[66:67], s[14:15], v[152:153]
	v_mul_f64_e32 v[76:77], s[20:21], v[76:77]
	v_fma_f64 v[66:67], v[66:67], s[4:5], v[72:73]
	v_mul_f64_e32 v[72:73], s[14:15], v[84:85]
	v_mul_f64_e32 v[50:51], s[22:23], v[50:51]
	v_fma_f64 v[140:141], v[140:141], s[4:5], v[150:151]
	v_add_f64_e32 v[150:151], v[154:155], v[239:240]
	v_add_f64_e32 v[70:71], v[128:129], v[70:71]
	v_mul_f64_e32 v[128:129], s[10:11], v[108:109]
	v_fma_f64 v[132:133], v[132:133], s[12:13], v[54:55]
	v_mul_f64_e32 v[54:55], s[10:11], v[52:53]
	v_fma_f64 v[58:59], v[90:91], s[12:13], v[58:59]
	v_mul_f64_e32 v[90:91], s[14:15], v[56:57]
	v_mul_f64_e32 v[124:125], s[4:5], v[44:45]
	;; [unrolled: 1-line block ×3, first 2 shown]
	v_fma_f64 v[94:95], v[64:65], s[4:5], v[94:95]
	v_fma_f64 v[60:61], v[64:65], s[14:15], v[60:61]
	;; [unrolled: 1-line block ×3, first 2 shown]
	v_mul_f64_e32 v[64:65], s[4:5], v[74:75]
	v_mul_f64_e32 v[120:121], s[0:1], v[110:111]
	v_fma_f64 v[102:103], v[118:119], s[18:19], v[102:103]
	v_fma_f64 v[82:83], v[134:135], s[12:13], v[82:83]
	v_fma_f64 v[112:113], v[114:115], s[4:5], v[112:113]
	v_fma_f64 v[80:81], v[10:11], s[12:13], v[80:81]
	v_fma_f64 v[114:115], v[10:11], s[12:13], v[6:7]
	v_add_f64_e32 v[6:7], v[156:157], v[203:204]
	v_fma_f64 v[10:11], v[68:69], s[4:5], v[92:93]
	v_fma_f64 v[62:63], v[8:9], s[12:13], v[62:63]
	;; [unrolled: 1-line block ×3, first 2 shown]
	v_mul_f64_e32 v[0:1], s[22:23], v[52:53]
	v_fma_f64 v[8:9], v[68:69], s[14:15], v[96:97]
	v_mul_f64_e32 v[68:69], s[20:21], v[56:57]
	v_fma_f64 v[98:99], v[44:45], s[18:19], v[98:99]
	v_fma_f64 v[96:97], v[2:3], s[12:13], v[116:117]
	;; [unrolled: 1-line block ×21, first 2 shown]
	v_add_f64_e32 v[40:41], v[106:107], v[34:35]
	v_fma_f64 v[128:129], v[70:71], s[12:13], v[60:61]
	v_add_f64_e64 v[54:55], v[34:35], -v[106:107]
	v_fma_f64 v[144:145], v[84:85], s[18:19], v[64:65]
	v_fma_f64 v[108:109], v[108:109], s[12:13], v[120:121]
	v_add_f64_e32 v[42:43], v[148:149], v[102:103]
	v_add_f64_e64 v[44:45], v[148:149], -v[102:103]
	v_add_f64_e64 v[46:47], v[122:123], -v[82:83]
	v_add_f64_e32 v[48:49], v[122:123], v[82:83]
	v_fma_f64 v[94:95], v[70:71], s[12:13], v[94:95]
	v_add_f64_e32 v[52:53], v[38:39], v[112:113]
	v_fma_f64 v[102:103], v[6:7], s[12:13], v[10:11]
	v_add_f64_e64 v[10:11], v[100:101], -v[241:242]
	v_add_f64_e32 v[64:65], v[249:250], v[245:246]
	v_fma_f64 v[106:107], v[132:133], s[0:1], v[0:1]
	v_fma_f64 v[120:121], v[6:7], s[12:13], v[8:9]
	v_fma_f64 v[122:123], v[58:59], s[4:5], v[68:69]
	v_add_f64_e32 v[0:1], v[241:242], v[100:101]
	v_add_f64_e32 v[2:3], v[80:81], v[98:99]
	;; [unrolled: 1-line block ×5, first 2 shown]
	v_add_f64_e64 v[32:33], v[80:81], -v[98:99]
	v_add_f64_e64 v[34:35], v[62:63], -v[116:117]
	v_add_f64_e32 v[50:51], v[36:37], v[118:119]
	v_add_f64_e64 v[56:57], v[36:37], -v[118:119]
	v_add_f64_e64 v[58:59], v[38:39], -v[112:113]
	;; [unrolled: 1-line block ×4, first 2 shown]
	v_add_f64_e32 v[66:67], v[76:77], v[72:73]
	v_add_f64_e64 v[68:69], v[76:77], -v[72:73]
	v_add_f64_e64 v[70:71], v[74:75], -v[78:79]
	v_add_f64_e32 v[72:73], v[74:75], v[78:79]
	v_add_f64_e32 v[74:75], v[88:89], v[110:111]
	v_add_f64_e64 v[78:79], v[245:246], -v[249:250]
	v_add_f64_e32 v[76:77], v[86:87], v[90:91]
	v_add_f64_e64 v[80:81], v[88:89], -v[110:111]
	v_add_f64_e64 v[82:83], v[86:87], -v[90:91]
	v_add_f64_e32 v[60:61], v[243:244], v[104:105]
	v_add_f64_e32 v[62:63], v[96:97], v[124:125]
	v_add_f64_e64 v[90:91], v[104:105], -v[243:244]
	;; [unrolled: 6-line block ×3, first 2 shown]
	v_add_f64_e64 v[114:115], v[138:139], -v[136:137]
	v_mul_u32_u24_e32 v92, 10, v198
	v_add_f64_e32 v[130:131], v[251:252], v[247:248]
	v_add_f64_e32 v[132:133], v[102:103], v[144:145]
	v_add_f64_e64 v[142:143], v[247:248], -v[251:252]
	v_add_f64_e64 v[148:149], v[128:129], -v[106:107]
	v_lshl_add_u32 v124, v92, 3, 0
	v_mul_i32_i24_e32 v92, 10, v185
	v_add_f64_e32 v[140:141], v[120:121], v[122:123]
	v_add_f64_e64 v[150:151], v[120:121], -v[122:123]
	v_add_f64_e32 v[136:137], v[94:95], v[108:109]
	v_add_f64_e32 v[138:139], v[128:129], v[106:107]
	v_add_f64_e64 v[144:145], v[102:103], -v[144:145]
	v_add_f64_e64 v[146:147], v[94:95], -v[108:109]
	s_load_b64 s[2:3], s[2:3], 0x0
	ds_store_b128 v124, v[12:15]
	ds_store_b128 v124, v[24:27] offset:16
	v_mul_i32_i24_e32 v12, 10, v188
	v_lshl_add_u32 v199, v92, 3, 0
	v_and_b32_e32 v134, 0xff, v198
	ds_store_b128 v124, v[16:19] offset:32
	ds_store_b128 v124, v[20:23] offset:48
	;; [unrolled: 1-line block ×3, first 2 shown]
	v_mad_i32_i24 v196, 0xffffffb8, v198, v124
	v_lshl_add_u32 v200, v12, 3, 0
	ds_store_b128 v199, v[0:3]
	ds_store_b128 v199, v[4:7] offset:16
	ds_store_b128 v199, v[8:11] offset:32
	;; [unrolled: 1-line block ×4, first 2 shown]
	ds_store_b128 v200, v[64:67]
	ds_store_b128 v200, v[72:75] offset:16
	v_mul_lo_u16 v64, 0xcd, v134
	v_mad_i32_i24 v213, 0xffffffb8, v185, v199
	v_add_nc_u32_e32 v192, 0x1800, v196
	v_add_nc_u32_e32 v193, 0x3000, v196
	;; [unrolled: 1-line block ×5, first 2 shown]
	v_lshl_add_u32 v205, v183, 3, 0
	v_lshrrev_b16 v123, 11, v64
	v_and_b32_e32 v135, 0xff, v185
	v_mad_i32_i24 v212, 0xffffffb8, v188, v200
	v_add_nc_u32_e32 v203, 0x3800, v196
	v_lshl_add_u32 v197, v182, 3, 0
	v_lshl_add_u32 v206, v187, 3, 0
	v_add_nc_u32_e32 v194, 0x1c00, v196
	v_lshl_add_u32 v201, v186, 3, 0
	v_lshl_add_u32 v208, v190, 3, 0
	;; [unrolled: 1-line block ×4, first 2 shown]
	v_add_nc_u32_e32 v207, 0x4000, v196
	ds_store_b128 v200, v[76:79] offset:32
	ds_store_b128 v200, v[68:71] offset:48
	;; [unrolled: 1-line block ×3, first 2 shown]
	global_wb scope:SCOPE_SE
	s_wait_dscnt 0x0
	s_wait_kmcnt 0x0
	s_barrier_signal -1
	s_barrier_wait -1
	global_inv scope:SCOPE_SE
	ds_load_2addr_b64 v[36:39], v192 offset0:42 offset1:123
	ds_load_2addr_b64 v[32:35], v193 offset0:84 offset1:165
	ds_load_b64 v[100:101], v213
	ds_load_b64 v[98:99], v212
	ds_load_2addr_b64 v[28:31], v194 offset0:76 offset1:157
	ds_load_2addr_b64 v[12:15], v195 offset0:118 offset1:199
	ds_load_2addr_b64 v[4:7], v202 offset0:110 offset1:191
	ds_load_2addr_b64 v[0:3], v203 offset0:152 offset1:233
	ds_load_b64 v[102:103], v196
	ds_load_b64 v[96:97], v197
	;; [unrolled: 1-line block ×4, first 2 shown]
	ds_load_2addr_b64 v[8:11], v191 offset0:16 offset1:97
	v_add_nc_u32_e32 v210, 0x2c00, v196
	v_add_nc_u32_e32 v211, 0x4400, v196
	ds_load_b64 v[110:111], v205
	ds_load_b64 v[108:109], v206
	;; [unrolled: 1-line block ×4, first 2 shown]
	ds_load_2addr_b64 v[24:27], v207 offset0:58 offset1:139
	ds_load_2addr_b64 v[20:23], v210 offset0:50 offset1:131
	;; [unrolled: 1-line block ×3, first 2 shown]
	global_wb scope:SCOPE_SE
	s_wait_dscnt 0x0
	s_barrier_signal -1
	s_barrier_wait -1
	global_inv scope:SCOPE_SE
	ds_store_b128 v124, v[40:43]
	ds_store_b128 v124, v[48:51] offset:16
	ds_store_b128 v124, v[52:55] offset:32
	;; [unrolled: 1-line block ×3, first 2 shown]
	v_mul_lo_u16 v40, 0xcd, v135
	v_mul_lo_u16 v41, v123, 10
	ds_store_b128 v124, v[56:59] offset:64
	ds_store_b128 v199, v[60:63]
	ds_store_b128 v199, v[84:87] offset:16
	ds_store_b128 v199, v[88:91] offset:32
	;; [unrolled: 1-line block ×3, first 2 shown]
	v_lshrrev_b16 v129, 11, v40
	v_sub_nc_u16 v40, v198, v41
	ds_store_b128 v199, v[116:119] offset:64
	ds_store_b128 v200, v[130:133]
	ds_store_b128 v200, v[136:139] offset:16
	ds_store_b128 v200, v[140:143] offset:32
	;; [unrolled: 1-line block ×3, first 2 shown]
	v_mul_lo_u16 v41, v129, 10
	v_and_b32_e32 v118, 0xff, v40
	ds_store_b128 v200, v[148:151] offset:64
	global_wb scope:SCOPE_SE
	s_wait_dscnt 0x0
	s_barrier_signal -1
	v_sub_nc_u16 v40, v185, v41
	v_lshlrev_b32_e32 v41, 5, v118
	s_barrier_wait -1
	global_inv scope:SCOPE_SE
	v_and_b32_e32 v168, 0xff, v188
	v_and_b32_e32 v167, 0xffff, v182
	s_clause 0x1
	global_load_b128 v[114:117], v41, s[8:9]
	global_load_b128 v[146:149], v41, s[8:9] offset:16
	v_and_b32_e32 v120, 0xff, v40
	v_mul_lo_u16 v42, 0xcd, v168
	v_mul_u32_u24_e32 v43, 0xcccd, v167
	v_and_b32_e32 v166, 0xffff, v186
	v_and_b32_e32 v169, 0xffff, v189
	v_lshlrev_b32_e32 v40, 5, v120
	v_lshrrev_b16 v125, 11, v42
	v_lshrrev_b32_e32 v119, 19, v43
	v_and_b32_e32 v162, 0xffff, v183
	v_mul_u32_u24_e32 v43, 0xcccd, v169
	s_clause 0x1
	global_load_b128 v[142:145], v40, s[8:9]
	global_load_b128 v[150:153], v40, s[8:9] offset:16
	v_mul_lo_u16 v42, v125, 10
	v_mul_lo_u16 v41, v119, 10
	v_lshrrev_b32_e32 v128, 19, v43
	v_and_b32_e32 v163, 0xffff, v187
	v_and_b32_e32 v164, 0xffff, v190
	v_sub_nc_u16 v42, v188, v42
	v_sub_nc_u16 v41, v182, v41
	v_and_b32_e32 v165, 0xffff, v184
	v_mul_u32_u24_e32 v43, 0xcccd, v163
	v_and_b32_e32 v123, 0xffff, v123
	v_and_b32_e32 v124, 0xff, v42
	;; [unrolled: 1-line block ×3, first 2 shown]
	v_mul_u32_u24_e32 v42, 0xcccd, v166
	v_lshrrev_b32_e32 v137, 19, v43
	v_mul_u32_u24_e32 v43, 0xcccd, v165
	v_lshlrev_b32_e32 v40, 5, v124
	v_lshlrev_b32_e32 v41, 5, v121
	s_clause 0x1
	global_load_b128 v[154:157], v40, s[8:9]
	global_load_b128 v[56:59], v41, s[8:9]
	v_lshrrev_b32_e32 v122, 19, v42
	s_clause 0x1
	global_load_b128 v[80:83], v40, s[8:9] offset:16
	global_load_b128 v[72:75], v41, s[8:9] offset:16
	v_mul_u32_u24_e32 v41, 0xcccd, v162
	v_mul_lo_u16 v44, v137, 10
	v_mul_lo_u16 v42, v122, 10
	v_lshrrev_b32_e32 v131, 19, v43
	v_mul_u32_u24_e32 v123, 0xf0, v123
	v_lshrrev_b32_e32 v138, 19, v41
	v_mul_u32_u24_e32 v41, 0xcccd, v164
	v_sub_nc_u16 v40, v186, v42
	v_sub_nc_u16 v43, v187, v44
	s_mov_b32 s4, 0xe8584caa
	s_mov_b32 s5, 0xbfebb67a
	v_lshrrev_b32_e32 v132, 19, v41
	v_and_b32_e32 v130, 0xffff, v40
	v_mul_lo_u16 v40, v128, 10
	v_and_b32_e32 v139, 0xffff, v43
	s_mov_b32 s11, 0x3febb67a
	v_mul_lo_u16 v44, v132, 10
	v_lshlrev_b32_e32 v42, 5, v130
	v_sub_nc_u16 v40, v189, v40
	s_clause 0x1
	global_load_b128 v[170:173], v42, s[8:9]
	global_load_b128 v[60:63], v42, s[8:9] offset:16
	v_and_b32_e32 v140, 0xffff, v40
	v_mul_lo_u16 v40, v138, 10
	v_mul_lo_u16 v42, v131, 10
	v_lshlrev_b32_e32 v45, 5, v139
	s_wait_alu 0xfffe
	s_mov_b32 s10, s4
	v_lshlrev_b32_e32 v41, 5, v140
	v_sub_nc_u16 v40, v183, v40
	v_sub_nc_u16 v42, v184, v42
	v_and_b32_e32 v129, 0xffff, v129
	v_and_b32_e32 v125, 0xffff, v125
	s_clause 0x1
	global_load_b128 v[174:177], v41, s[8:9]
	global_load_b128 v[64:67], v41, s[8:9] offset:16
	v_and_b32_e32 v141, 0xffff, v40
	v_sub_nc_u16 v40, v190, v44
	v_and_b32_e32 v133, 0xffff, v42
	v_mul_u32_u24_e32 v125, 0xf0, v125
	v_lshlrev_b32_e32 v121, 3, v121
	v_lshlrev_b32_e32 v44, 5, v141
	v_and_b32_e32 v136, 0xffff, v40
	s_clause 0x2
	global_load_b128 v[76:79], v44, s[8:9]
	global_load_b128 v[40:43], v45, s[8:9]
	global_load_b128 v[68:71], v44, s[8:9] offset:16
	v_lshlrev_b32_e32 v84, 5, v136
	v_lshlrev_b32_e32 v88, 5, v133
	s_clause 0x4
	global_load_b128 v[48:51], v45, s[8:9] offset:16
	global_load_b128 v[44:47], v84, s[8:9]
	global_load_b128 v[52:55], v88, s[8:9]
	global_load_b128 v[84:87], v84, s[8:9] offset:16
	global_load_b128 v[88:91], v88, s[8:9] offset:16
	ds_load_2addr_b64 v[178:181], v192 offset0:42 offset1:123
	ds_load_2addr_b64 v[214:217], v193 offset0:84 offset1:165
	;; [unrolled: 1-line block ×4, first 2 shown]
	v_mul_u32_u24_e32 v122, 0xf0, v122
	v_mul_u32_u24_e32 v128, 0xf0, v128
	v_cmp_gt_u32_e64 s0, 9, v198
	s_wait_loadcnt_dscnt 0x1303
	v_mul_f64_e32 v[112:113], v[178:179], v[116:117]
	v_mul_f64_e32 v[116:117], v[36:37], v[116:117]
	s_wait_loadcnt_dscnt 0x1202
	v_mul_f64_e32 v[226:227], v[214:215], v[148:149]
	v_mul_f64_e32 v[148:149], v[32:33], v[148:149]
	s_wait_loadcnt 0x11
	v_mul_f64_e32 v[158:159], v[180:181], v[144:145]
	v_mul_f64_e32 v[144:145], v[38:39], v[144:145]
	s_wait_loadcnt 0x10
	v_mul_f64_e32 v[228:229], v[216:217], v[152:153]
	v_mul_f64_e32 v[152:153], v[34:35], v[152:153]
	s_wait_loadcnt_dscnt 0xf01
	v_mul_f64_e32 v[230:231], v[218:219], v[156:157]
	s_wait_loadcnt 0xe
	v_mul_f64_e32 v[232:233], v[30:31], v[58:59]
	s_wait_loadcnt_dscnt 0xd00
	v_mul_f64_e32 v[234:235], v[222:223], v[82:83]
	v_mul_f64_e32 v[236:237], v[12:13], v[82:83]
	v_fma_f64 v[112:113], v[36:37], v[114:115], v[112:113]
	v_fma_f64 v[114:115], v[178:179], v[114:115], -v[116:117]
	v_mul_f64_e32 v[116:117], v[28:29], v[156:157]
	v_mul_f64_e32 v[178:179], v[220:221], v[58:59]
	s_wait_loadcnt 0xc
	v_mul_f64_e32 v[238:239], v[224:225], v[74:75]
	v_fma_f64 v[58:59], v[32:33], v[146:147], v[226:227]
	v_mul_f64_e32 v[226:227], v[14:15], v[74:75]
	v_fma_f64 v[82:83], v[214:215], v[146:147], -v[148:149]
	ds_load_2addr_b64 v[146:149], v203 offset0:152 offset1:233
	v_fma_f64 v[36:37], v[38:39], v[142:143], v[158:159]
	v_fma_f64 v[38:39], v[180:181], v[142:143], -v[144:145]
	ds_load_2addr_b64 v[142:145], v202 offset0:110 offset1:191
	v_fma_f64 v[34:35], v[34:35], v[150:151], v[228:229]
	v_fma_f64 v[32:33], v[216:217], v[150:151], -v[152:153]
	ds_load_2addr_b64 v[150:153], v191 offset0:16 offset1:97
	ds_load_2addr_b64 v[156:159], v207 offset0:58 offset1:139
	;; [unrolled: 1-line block ×3, first 2 shown]
	v_fma_f64 v[74:75], v[28:29], v[154:155], v[230:231]
	v_fma_f64 v[228:229], v[12:13], v[80:81], v[234:235]
	v_fma_f64 v[12:13], v[222:223], v[80:81], -v[236:237]
	v_fma_f64 v[116:117], v[218:219], v[154:155], -v[116:117]
	s_wait_loadcnt_dscnt 0xb03
	v_mul_f64_e32 v[154:155], v[142:143], v[172:173]
	v_fma_f64 v[28:29], v[30:31], v[56:57], v[178:179]
	ds_load_2addr_b64 v[178:181], v210 offset0:50 offset1:131
	v_fma_f64 v[30:31], v[220:221], v[56:57], -v[232:233]
	s_wait_loadcnt 0x9
	v_mul_f64_e32 v[56:57], v[144:145], v[176:177]
	v_mul_f64_e32 v[218:219], v[146:147], v[62:63]
	s_wait_loadcnt 0x8
	v_mul_f64_e32 v[220:221], v[148:149], v[66:67]
	s_wait_loadcnt_dscnt 0x703
	v_mul_f64_e32 v[80:81], v[150:151], v[78:79]
	s_wait_loadcnt_dscnt 0x502
	v_mul_f64_e32 v[232:233], v[156:157], v[70:71]
	v_mul_f64_e32 v[172:173], v[4:5], v[172:173]
	v_fma_f64 v[230:231], v[14:15], v[72:73], v[238:239]
	s_wait_loadcnt 0x4
	v_mul_f64_e32 v[234:235], v[158:159], v[50:51]
	v_fma_f64 v[14:15], v[224:225], v[72:73], -v[226:227]
	v_mul_f64_e32 v[222:223], v[152:153], v[42:43]
	s_wait_loadcnt_dscnt 0x101
	v_mul_f64_e32 v[226:227], v[214:215], v[86:87]
	s_wait_loadcnt 0x0
	v_mul_f64_e32 v[236:237], v[216:217], v[90:91]
	v_mul_f64_e32 v[62:63], v[0:1], v[62:63]
	;; [unrolled: 1-line block ×4, first 2 shown]
	s_wait_dscnt 0x0
	v_mul_f64_e32 v[224:225], v[180:181], v[54:55]
	v_mul_f64_e32 v[72:73], v[178:179], v[46:47]
	;; [unrolled: 1-line block ×3, first 2 shown]
	v_fma_f64 v[4:5], v[4:5], v[170:171], v[154:155]
	v_mul_f64_e32 v[154:155], v[6:7], v[176:177]
	v_fma_f64 v[6:7], v[6:7], v[174:175], v[56:57]
	v_mul_f64_e32 v[56:57], v[2:3], v[66:67]
	v_mul_f64_e32 v[66:67], v[8:9], v[78:79]
	v_fma_f64 v[0:1], v[0:1], v[60:61], v[218:219]
	v_fma_f64 v[2:3], v[2:3], v[64:65], v[220:221]
	v_add_f64_e32 v[78:79], v[112:113], v[58:59]
	v_fma_f64 v[8:9], v[8:9], v[76:77], v[80:81]
	v_fma_f64 v[24:25], v[24:25], v[68:69], v[232:233]
	v_add_f64_e32 v[80:81], v[36:37], v[34:35]
	v_fma_f64 v[142:143], v[142:143], v[170:171], -v[172:173]
	v_fma_f64 v[170:171], v[26:27], v[48:49], v[234:235]
	v_mul_f64_e32 v[26:27], v[26:27], v[50:51]
	v_fma_f64 v[10:11], v[10:11], v[40:41], v[222:223]
	v_fma_f64 v[60:61], v[146:147], v[60:61], -v[62:63]
	v_fma_f64 v[68:69], v[156:157], v[68:69], -v[70:71]
	v_add_f64_e32 v[70:71], v[100:101], v[36:37]
	v_fma_f64 v[40:41], v[152:153], v[40:41], -v[42:43]
	v_fma_f64 v[50:51], v[22:23], v[52:53], v[224:225]
	v_mul_f64_e32 v[22:23], v[22:23], v[54:55]
	v_mul_f64_e32 v[54:55], v[16:17], v[86:87]
	v_add_f64_e32 v[86:87], v[74:75], v[228:229]
	v_fma_f64 v[20:21], v[20:21], v[44:45], v[72:73]
	v_fma_f64 v[16:17], v[16:17], v[84:85], v[226:227]
	;; [unrolled: 1-line block ×3, first 2 shown]
	v_mul_f64_e32 v[18:19], v[18:19], v[90:91]
	v_fma_f64 v[44:45], v[178:179], v[44:45], -v[46:47]
	v_fma_f64 v[90:91], v[144:145], v[174:175], -v[154:155]
	v_add_f64_e32 v[144:145], v[28:29], v[230:231]
	v_add_f64_e32 v[152:153], v[92:93], v[6:7]
	v_fma_f64 v[56:57], v[148:149], v[64:65], -v[56:57]
	v_fma_f64 v[62:63], v[150:151], v[76:77], -v[66:67]
	v_add_f64_e32 v[64:65], v[102:103], v[112:113]
	v_add_f64_e32 v[66:67], v[4:5], v[0:1]
	v_add_f64_e64 v[76:77], v[114:115], -v[82:83]
	v_fma_f64 v[78:79], v[78:79], -0.5, v[102:103]
	v_add_f64_e32 v[146:147], v[6:7], v[2:3]
	v_add_f64_e32 v[150:151], v[8:9], v[24:25]
	v_add_f64_e64 v[102:103], v[38:39], -v[32:33]
	v_add_f64_e32 v[148:149], v[98:99], v[74:75]
	v_fma_f64 v[80:81], v[80:81], -0.5, v[100:101]
	v_add_f64_e64 v[100:101], v[116:117], -v[12:13]
	v_fma_f64 v[26:27], v[158:159], v[48:49], -v[26:27]
	v_add_f64_e32 v[42:43], v[10:11], v[170:171]
	v_add_f64_e32 v[156:157], v[110:111], v[8:9]
	v_add_f64_e32 v[70:71], v[70:71], v[34:35]
	v_add_f64_e32 v[174:175], v[108:109], v[10:11]
	v_add_f64_e64 v[34:35], v[36:37], -v[34:35]
	v_fma_f64 v[22:23], v[180:181], v[52:53], -v[22:23]
	v_fma_f64 v[46:47], v[214:215], v[84:85], -v[54:55]
	v_fma_f64 v[86:87], v[86:87], -0.5, v[98:99]
	v_lshlrev_b32_e32 v99, 3, v118
	v_add_f64_e32 v[48:49], v[20:21], v[16:17]
	v_add_f64_e32 v[52:53], v[96:97], v[28:29]
	v_fma_f64 v[18:19], v[216:217], v[88:89], -v[18:19]
	v_add_f64_e32 v[54:55], v[50:51], v[72:73]
	v_add_f64_e64 v[84:85], v[30:31], -v[14:15]
	v_lshlrev_b32_e32 v118, 3, v120
	v_lshlrev_b32_e32 v120, 3, v124
	v_add3_u32 v222, 0, v123, v99
	v_add_f64_e32 v[123:124], v[94:95], v[4:5]
	v_add_f64_e32 v[216:217], v[106:107], v[20:21]
	v_mul_u32_u24_e32 v98, 0xf0, v129
	v_lshlrev_b32_e32 v129, 3, v140
	v_add_f64_e64 v[28:29], v[28:29], -v[230:231]
	v_fma_f64 v[88:89], v[144:145], -0.5, v[96:97]
	v_add_f64_e64 v[144:145], v[142:143], -v[60:61]
	v_add3_u32 v223, 0, v98, v118
	v_add_f64_e64 v[154:155], v[90:91], -v[56:57]
	ds_load_b64 v[96:97], v213
	ds_load_b64 v[98:99], v212
	v_add_f64_e32 v[64:65], v[64:65], v[58:59]
	v_fma_f64 v[66:67], v[66:67], -0.5, v[94:95]
	v_add_f64_e64 v[58:59], v[112:113], -v[58:59]
	v_fma_f64 v[94:95], v[76:77], s[4:5], v[78:79]
	v_fma_f64 v[92:93], v[146:147], -0.5, v[92:93]
	s_wait_alu 0xfffe
	v_fma_f64 v[76:77], v[76:77], s[10:11], v[78:79]
	v_add_f64_e64 v[78:79], v[62:63], -v[68:69]
	v_fma_f64 v[110:111], v[150:151], -0.5, v[110:111]
	v_add_f64_e32 v[146:147], v[148:149], v[228:229]
	v_fma_f64 v[148:149], v[102:103], s[4:5], v[80:81]
	v_fma_f64 v[80:81], v[102:103], s[10:11], v[80:81]
	v_add_f64_e64 v[176:177], v[40:41], -v[26:27]
	v_fma_f64 v[42:43], v[42:43], -0.5, v[108:109]
	v_add_f64_e64 v[8:9], v[8:9], -v[24:25]
	v_add_f64_e64 v[10:11], v[10:11], -v[170:171]
	;; [unrolled: 1-line block ×3, first 2 shown]
	v_fma_f64 v[102:103], v[100:101], s[4:5], v[86:87]
	v_fma_f64 v[86:87], v[100:101], s[10:11], v[86:87]
	v_fma_f64 v[48:49], v[48:49], -0.5, v[106:107]
	v_add_f64_e32 v[106:107], v[104:105], v[50:51]
	v_add_f64_e32 v[52:53], v[52:53], v[230:231]
	v_fma_f64 v[54:55], v[54:55], -0.5, v[104:105]
	v_add_f64_e64 v[220:221], v[22:23], -v[18:19]
	ds_load_b64 v[100:101], v196
	ds_load_b64 v[150:151], v197
	;; [unrolled: 1-line block ×8, first 2 shown]
	global_wb scope:SCOPE_SE
	s_wait_dscnt 0x0
	s_barrier_signal -1
	s_barrier_wait -1
	global_inv scope:SCOPE_SE
	v_add_f64_e32 v[123:124], v[123:124], v[0:1]
	ds_store_2addr_b64 v222, v[64:65], v[94:95] offset1:10
	ds_store_b64 v222, v[76:77] offset:160
	v_fma_f64 v[104:105], v[84:85], s[4:5], v[88:89]
	v_fma_f64 v[84:85], v[84:85], s[10:11], v[88:89]
	;; [unrolled: 1-line block ×3, first 2 shown]
	v_add_f64_e32 v[64:65], v[152:153], v[2:3]
	v_fma_f64 v[76:77], v[154:155], s[4:5], v[92:93]
	v_fma_f64 v[66:67], v[144:145], s[10:11], v[66:67]
	v_fma_f64 v[92:93], v[154:155], s[10:11], v[92:93]
	v_add3_u32 v144, 0, v125, v120
	v_mul_u32_u24_e32 v120, 0xf0, v119
	v_add_f64_e32 v[94:95], v[156:157], v[24:25]
	v_fma_f64 v[118:119], v[78:79], s[4:5], v[110:111]
	ds_store_2addr_b64 v223, v[70:71], v[148:149] offset1:10
	ds_store_b64 v223, v[80:81] offset:160
	ds_store_2addr_b64 v144, v[146:147], v[102:103] offset1:10
	ds_store_b64 v144, v[86:87] offset:160
	v_fma_f64 v[70:71], v[78:79], s[10:11], v[110:111]
	v_add_f64_e32 v[78:79], v[174:175], v[170:171]
	v_fma_f64 v[80:81], v[176:177], s[4:5], v[42:43]
	v_fma_f64 v[42:43], v[176:177], s[10:11], v[42:43]
	v_add_f64_e32 v[86:87], v[216:217], v[16:17]
	v_fma_f64 v[102:103], v[218:219], s[4:5], v[48:49]
	v_add3_u32 v145, 0, v120, v121
	v_lshlrev_b32_e32 v125, 3, v130
	v_fma_f64 v[48:49], v[218:219], s[10:11], v[48:49]
	v_fma_f64 v[110:111], v[220:221], s[4:5], v[54:55]
	v_add_f64_e32 v[120:121], v[114:115], v[82:83]
	v_fma_f64 v[54:55], v[220:221], s[10:11], v[54:55]
	v_add_f64_e32 v[106:107], v[106:107], v[72:73]
	v_add_f64_e32 v[36:37], v[98:99], v[116:117]
	v_add_f64_e64 v[0:1], v[4:5], -v[0:1]
	v_add_f64_e64 v[2:3], v[6:7], -v[2:3]
	v_add_f64_e32 v[24:25], v[178:179], v[40:41]
	v_add_f64_e32 v[6:7], v[108:109], v[62:63]
	v_add_f64_e32 v[4:5], v[172:173], v[90:91]
	v_add_f64_e64 v[16:17], v[20:21], -v[16:17]
	v_add_f64_e32 v[20:21], v[214:215], v[22:23]
	ds_store_2addr_b64 v145, v[52:53], v[104:105] offset1:10
	v_add3_u32 v104, 0, v122, v125
	v_mul_u32_u24_e32 v105, 0xf0, v138
	v_add3_u32 v138, 0, v128, v129
	ds_store_b64 v145, v[84:85] offset:160
	ds_store_2addr_b64 v104, v[123:124], v[88:89] offset1:10
	ds_store_b64 v104, v[66:67] offset:160
	v_add_f64_e32 v[66:67], v[38:39], v[32:33]
	v_add_f64_e32 v[84:85], v[116:117], v[12:13]
	;; [unrolled: 1-line block ×3, first 2 shown]
	v_lshlrev_b32_e32 v114, 3, v141
	ds_store_2addr_b64 v138, v[64:65], v[76:77] offset1:10
	ds_store_b64 v138, v[92:93] offset:160
	v_add_f64_e32 v[64:65], v[30:31], v[14:15]
	v_mul_u32_u24_e32 v88, 0xf0, v137
	v_lshlrev_b32_e32 v89, 3, v139
	v_add3_u32 v105, 0, v105, v114
	v_add_f64_e32 v[76:77], v[142:143], v[60:61]
	v_add_f64_e32 v[92:93], v[62:63], v[68:69]
	v_mul_u32_u24_e32 v114, 0xf0, v131
	v_add3_u32 v137, 0, v88, v89
	ds_store_2addr_b64 v105, v[94:95], v[118:119] offset1:10
	v_mul_u32_u24_e32 v94, 0xf0, v132
	v_lshlrev_b32_e32 v95, 3, v136
	v_add_f64_e32 v[88:89], v[90:91], v[56:57]
	ds_store_b64 v105, v[70:71] offset:160
	v_add_f64_e32 v[70:71], v[40:41], v[26:27]
	ds_store_2addr_b64 v137, v[78:79], v[80:81] offset1:10
	v_add3_u32 v136, 0, v94, v95
	v_add_f64_e32 v[78:79], v[44:45], v[46:47]
	ds_store_b64 v137, v[42:43] offset:160
	ds_store_2addr_b64 v136, v[86:87], v[102:103] offset1:10
	v_add_f64_e32 v[42:43], v[22:23], v[18:19]
	v_lshlrev_b32_e32 v115, 3, v133
	v_add_f64_e64 v[80:81], v[74:75], -v[228:229]
	v_add_f64_e32 v[38:39], v[96:97], v[38:39]
	v_add_f64_e32 v[30:31], v[150:151], v[30:31]
	;; [unrolled: 1-line block ×3, first 2 shown]
	v_add3_u32 v139, 0, v114, v115
	ds_store_b64 v136, v[48:49] offset:160
	ds_store_2addr_b64 v139, v[106:107], v[110:111] offset1:10
	v_fma_f64 v[48:49], v[120:121], -0.5, v[100:101]
	ds_store_b64 v139, v[54:55] offset:160
	v_fma_f64 v[54:55], v[66:67], -0.5, v[96:97]
	v_fma_f64 v[66:67], v[84:85], -0.5, v[98:99]
	v_add_f64_e32 v[52:53], v[52:53], v[82:83]
	v_add_f64_e32 v[82:83], v[158:159], v[142:143]
	;; [unrolled: 1-line block ×3, first 2 shown]
	v_fma_f64 v[64:65], v[64:65], -0.5, v[150:151]
	v_add_f64_e32 v[24:25], v[24:25], v[26:27]
	v_add_f64_e32 v[68:69], v[6:7], v[68:69]
	;; [unrolled: 1-line block ×3, first 2 shown]
	v_fma_f64 v[76:77], v[76:77], -0.5, v[158:159]
	v_fma_f64 v[62:63], v[92:93], -0.5, v[108:109]
	v_add_f64_e32 v[18:19], v[20:21], v[18:19]
	global_wb scope:SCOPE_SE
	s_wait_dscnt 0x0
	s_barrier_signal -1
	s_barrier_wait -1
	global_inv scope:SCOPE_SE
	v_fma_f64 v[88:89], v[88:89], -0.5, v[172:173]
	ds_load_b64 v[114:115], v213
	ds_load_b64 v[112:113], v212
	v_fma_f64 v[40:41], v[70:71], -0.5, v[178:179]
	v_fma_f64 v[70:71], v[78:79], -0.5, v[180:181]
	;; [unrolled: 1-line block ×3, first 2 shown]
	v_add_f64_e64 v[42:43], v[50:51], -v[72:73]
	ds_load_b64 v[132:133], v196
	ds_load_b64 v[130:131], v197
	ds_load_b64 v[128:129], v201
	ds_load_b64 v[124:125], v204
	ds_load_b64 v[122:123], v205
	ds_load_b64 v[120:121], v206
	ds_load_b64 v[118:119], v208
	ds_load_b64 v[116:117], v209
	ds_load_2addr_b64 v[94:97], v192 offset0:42 offset1:123
	ds_load_2addr_b64 v[84:87], v193 offset0:84 offset1:165
	;; [unrolled: 1-line block ×3, first 2 shown]
	v_add_f64_e32 v[32:33], v[38:39], v[32:33]
	v_add_f64_e32 v[30:31], v[30:31], v[14:15]
	;; [unrolled: 1-line block ×3, first 2 shown]
	v_fma_f64 v[50:51], v[58:59], s[10:11], v[48:49]
	v_fma_f64 v[48:49], v[58:59], s[4:5], v[48:49]
	;; [unrolled: 1-line block ×6, first 2 shown]
	v_add_f64_e32 v[60:61], v[82:83], v[60:61]
	v_fma_f64 v[66:67], v[28:29], s[10:11], v[64:65]
	v_fma_f64 v[28:29], v[28:29], s[4:5], v[64:65]
	ds_load_2addr_b64 v[80:83], v202 offset0:110 offset1:191
	v_fma_f64 v[64:65], v[0:1], s[10:11], v[76:77]
	v_fma_f64 v[92:93], v[0:1], s[4:5], v[76:77]
	;; [unrolled: 1-line block ×4, first 2 shown]
	ds_load_2addr_b64 v[76:79], v195 offset0:118 offset1:199
	v_fma_f64 v[100:101], v[2:3], s[4:5], v[88:89]
	v_fma_f64 v[98:99], v[2:3], s[10:11], v[88:89]
	;; [unrolled: 1-line block ×4, first 2 shown]
	ds_load_2addr_b64 v[88:91], v203 offset0:152 offset1:233
	ds_load_2addr_b64 v[12:15], v191 offset0:16 offset1:97
	;; [unrolled: 1-line block ×5, first 2 shown]
	v_fma_f64 v[46:47], v[16:17], s[10:11], v[70:71]
	v_fma_f64 v[16:17], v[16:17], s[4:5], v[70:71]
	global_wb scope:SCOPE_SE
	s_wait_dscnt 0x0
	s_barrier_signal -1
	s_barrier_wait -1
	v_fma_f64 v[20:21], v[42:43], s[10:11], v[22:23]
	v_fma_f64 v[22:23], v[42:43], s[4:5], v[22:23]
	global_inv scope:SCOPE_SE
	ds_store_2addr_b64 v222, v[52:53], v[50:51] offset1:10
	ds_store_b64 v222, v[48:49] offset:160
	ds_store_2addr_b64 v223, v[32:33], v[38:39] offset1:10
	ds_store_b64 v223, v[34:35] offset:160
	ds_store_2addr_b64 v144, v[36:37], v[54:55] offset1:10
	v_mul_lo_u16 v32, 0x89, v134
	ds_store_b64 v144, v[58:59] offset:160
	ds_store_2addr_b64 v145, v[30:31], v[66:67] offset1:10
	ds_store_b64 v145, v[28:29] offset:160
	v_mul_lo_u16 v28, 0x89, v135
	v_lshrrev_b16 v171, 12, v32
	ds_store_2addr_b64 v104, v[60:61], v[64:65] offset1:10
	ds_store_b64 v104, v[92:93] offset:160
	ds_store_2addr_b64 v138, v[56:57], v[98:99] offset1:10
	v_lshrrev_b16 v170, 12, v28
	v_mul_lo_u16 v28, v171, 30
	ds_store_b64 v138, v[100:101] offset:160
	ds_store_2addr_b64 v105, v[68:69], v[102:103] offset1:10
	ds_store_b64 v105, v[62:63] offset:160
	ds_store_2addr_b64 v137, v[24:25], v[26:27] offset1:10
	;; [unrolled: 2-line block ×3, first 2 shown]
	v_mul_lo_u16 v29, v170, 30
	v_sub_nc_u16 v24, v198, v28
	ds_store_b64 v136, v[16:17] offset:160
	ds_store_2addr_b64 v139, v[18:19], v[20:21] offset1:10
	ds_store_b64 v139, v[22:23] offset:160
	v_sub_nc_u16 v25, v185, v29
	v_and_b32_e32 v173, 0xff, v24
	v_mul_lo_u16 v18, 0x89, v168
	v_mul_u32_u24_e32 v19, 0x8889, v167
	global_wb scope:SCOPE_SE
	s_wait_dscnt 0x0
	v_and_b32_e32 v172, 0xff, v25
	v_lshlrev_b32_e32 v16, 5, v173
	v_lshrrev_b16 v175, 12, v18
	v_lshrrev_b32_e32 v174, 20, v19
	s_barrier_signal -1
	v_lshlrev_b32_e32 v17, 5, v172
	s_barrier_wait -1
	global_inv scope:SCOPE_SE
	s_clause 0x2
	global_load_b128 v[98:101], v16, s[8:9] offset:320
	global_load_b128 v[108:111], v16, s[8:9] offset:336
	;; [unrolled: 1-line block ×3, first 2 shown]
	v_mul_lo_u16 v18, v175, 30
	v_mul_lo_u16 v16, v174, 30
	global_load_b128 v[144:147], v17, s[8:9] offset:336
	v_mul_u32_u24_e32 v56, 0x8889, v164
	v_mul_u32_u24_e32 v57, 0x8889, v165
	v_sub_nc_u16 v18, v188, v18
	v_sub_nc_u16 v16, v182, v16
	s_delay_alu instid0(VALU_DEP_4) | instskip(NEXT) | instid1(VALU_DEP_4)
	v_lshrrev_b32_e32 v245, 20, v56
	v_lshrrev_b32_e32 v180, 20, v57
	s_delay_alu instid0(VALU_DEP_4) | instskip(NEXT) | instid1(VALU_DEP_4)
	v_and_b32_e32 v177, 0xff, v18
	v_and_b32_e32 v176, 0xffff, v16
	v_mul_u32_u24_e32 v18, 0x8889, v169
	v_mul_lo_u16 v56, v245, 30
	v_mul_lo_u16 v57, v180, 30
	v_lshlrev_b32_e32 v16, 5, v177
	v_lshlrev_b32_e32 v20, 5, v176
	v_lshrrev_b32_e32 v178, 20, v18
	v_mul_u32_u24_e32 v18, 0x8889, v163
	v_sub_nc_u16 v56, v190, v56
	s_clause 0x1
	global_load_b128 v[148:151], v16, s[8:9] offset:320
	global_load_b128 v[152:155], v20, s[8:9] offset:320
	v_mul_u32_u24_e32 v17, 0x8889, v166
	v_mul_lo_u16 v21, v178, 30
	v_lshrrev_b32_e32 v215, 20, v18
	v_sub_nc_u16 v57, v184, v57
	v_and_b32_e32 v181, 0xffff, v56
	v_lshrrev_b32_e32 v179, 20, v17
	v_mul_u32_u24_e32 v17, 0x8889, v162
	v_sub_nc_u16 v18, v189, v21
	v_mul_lo_u16 v22, v215, 30
	v_and_b32_e32 v214, 0xffff, v57
	v_mul_lo_u16 v19, v179, 30
	v_lshrrev_b32_e32 v217, 20, v17
	v_and_b32_e32 v218, 0xffff, v18
	v_sub_nc_u16 v25, v187, v22
	v_lshlrev_b32_e32 v64, 5, v181
	v_sub_nc_u16 v17, v186, v19
	v_mul_lo_u16 v21, v217, 30
	v_lshlrev_b32_e32 v36, 5, v218
	v_and_b32_e32 v216, 0xffff, v25
	v_lshlrev_b32_e32 v68, 5, v214
	v_and_b32_e32 v219, 0xffff, v17
	global_load_b128 v[16:19], v16, s[8:9] offset:336
	v_sub_nc_u16 v24, v183, v21
	v_lshlrev_b32_e32 v49, 5, v216
	global_load_b128 v[20:23], v20, s[8:9] offset:336
	v_lshlrev_b32_e32 v26, 5, v219
	v_and_b32_e32 v220, 0xffff, v24
	s_clause 0x2
	global_load_b128 v[28:31], v26, s[8:9] offset:320
	global_load_b128 v[32:35], v36, s[8:9] offset:320
	;; [unrolled: 1-line block ×3, first 2 shown]
	v_lshlrev_b32_e32 v48, 5, v220
	s_clause 0x8
	global_load_b128 v[36:39], v36, s[8:9] offset:336
	global_load_b128 v[40:43], v48, s[8:9] offset:320
	global_load_b128 v[44:47], v49, s[8:9] offset:320
	global_load_b128 v[52:55], v48, s[8:9] offset:336
	global_load_b128 v[48:51], v49, s[8:9] offset:336
	global_load_b128 v[56:59], v64, s[8:9] offset:320
	global_load_b128 v[60:63], v68, s[8:9] offset:320
	global_load_b128 v[64:67], v64, s[8:9] offset:336
	global_load_b128 v[68:71], v68, s[8:9] offset:336
	ds_load_2addr_b64 v[134:137], v192 offset0:42 offset1:123
	ds_load_2addr_b64 v[156:159], v193 offset0:84 offset1:165
	;; [unrolled: 1-line block ×3, first 2 shown]
	s_wait_loadcnt_dscnt 0x1302
	v_mul_f64_e32 v[92:93], v[134:135], v[100:101]
	v_mul_f64_e32 v[100:101], v[94:95], v[100:101]
	s_wait_loadcnt 0x11
	v_mul_f64_e32 v[106:107], v[136:137], v[104:105]
	v_mul_f64_e32 v[104:105], v[96:97], v[104:105]
	s_wait_dscnt 0x1
	v_mul_f64_e32 v[225:226], v[156:157], v[110:111]
	v_mul_f64_e32 v[110:111], v[84:85], v[110:111]
	s_wait_loadcnt 0x10
	v_mul_f64_e32 v[227:228], v[158:159], v[146:147]
	v_mul_f64_e32 v[146:147], v[86:87], v[146:147]
	s_wait_loadcnt_dscnt 0xf00
	v_mul_f64_e32 v[229:230], v[221:222], v[150:151]
	v_mul_f64_e32 v[231:232], v[72:73], v[150:151]
	s_wait_loadcnt 0xe
	v_mul_f64_e32 v[233:234], v[223:224], v[154:155]
	v_mul_f64_e32 v[235:236], v[74:75], v[154:155]
	v_fma_f64 v[140:141], v[94:95], v[98:99], v[92:93]
	v_fma_f64 v[138:139], v[134:135], v[98:99], -v[100:101]
	ds_load_2addr_b64 v[92:95], v195 offset0:118 offset1:199
	v_fma_f64 v[142:143], v[96:97], v[102:103], v[106:107]
	ds_load_2addr_b64 v[96:99], v202 offset0:110 offset1:191
	v_fma_f64 v[136:137], v[136:137], v[102:103], -v[104:105]
	ds_load_2addr_b64 v[100:103], v203 offset0:152 offset1:233
	ds_load_2addr_b64 v[104:107], v191 offset0:16 offset1:97
	v_fma_f64 v[150:151], v[84:85], v[108:109], v[225:226]
	v_fma_f64 v[134:135], v[156:157], v[108:109], -v[110:111]
	ds_load_2addr_b64 v[108:111], v207 offset0:58 offset1:139
	v_fma_f64 v[154:155], v[86:87], v[144:145], v[227:228]
	v_fma_f64 v[84:85], v[158:159], v[144:145], -v[146:147]
	s_wait_loadcnt 0xd
	v_mul_f64_e32 v[158:159], v[76:77], v[18:19]
	s_wait_loadcnt 0xc
	v_mul_f64_e32 v[156:157], v[78:79], v[22:23]
	s_wait_dscnt 0x4
	v_mul_f64_e32 v[225:226], v[92:93], v[18:19]
	v_mul_f64_e32 v[227:228], v[94:95], v[22:23]
	s_wait_loadcnt_dscnt 0xb03
	v_mul_f64_e32 v[237:238], v[96:97], v[30:31]
	s_wait_loadcnt 0xa
	v_mul_f64_e32 v[239:240], v[98:99], v[34:35]
	s_wait_loadcnt_dscnt 0x902
	v_mul_f64_e32 v[241:242], v[100:101], v[26:27]
	v_fma_f64 v[146:147], v[72:73], v[148:149], v[229:230]
	v_fma_f64 v[86:87], v[221:222], v[148:149], -v[231:232]
	v_fma_f64 v[148:149], v[74:75], v[152:153], v[233:234]
	s_wait_loadcnt_dscnt 0x400
	v_mul_f64_e32 v[233:234], v[110:111], v[50:51]
	ds_load_2addr_b64 v[72:75], v210 offset0:50 offset1:131
	v_fma_f64 v[144:145], v[223:224], v[152:153], -v[235:236]
	v_mul_f64_e32 v[34:35], v[82:83], v[34:35]
	v_mul_f64_e32 v[243:244], v[102:103], v[38:39]
	;; [unrolled: 1-line block ×9, first 2 shown]
	v_fma_f64 v[152:153], v[76:77], v[16:17], v[225:226]
	v_fma_f64 v[76:77], v[78:79], v[20:21], v[227:228]
	v_mul_f64_e32 v[78:79], v[80:81], v[30:31]
	v_fma_f64 v[30:31], v[80:81], v[28:29], v[237:238]
	v_fma_f64 v[18:19], v[82:83], v[32:33], v[239:240]
	v_mul_f64_e32 v[80:81], v[88:89], v[26:27]
	v_fma_f64 v[26:27], v[88:89], v[24:25], v[241:242]
	s_wait_loadcnt_dscnt 0x300
	v_mul_f64_e32 v[82:83], v[72:73], v[58:59]
	v_fma_f64 v[88:89], v[10:11], v[48:49], v[233:234]
	v_mul_f64_e32 v[10:11], v[10:11], v[50:51]
	s_wait_loadcnt 0x2
	v_mul_f64_e32 v[50:51], v[74:75], v[62:63]
	v_mul_f64_e32 v[58:59], v[4:5], v[58:59]
	v_mul_f64_e32 v[62:63], v[6:7], v[62:63]
	v_fma_f64 v[22:23], v[90:91], v[36:37], v[243:244]
	v_fma_f64 v[12:13], v[12:13], v[40:41], v[221:222]
	v_fma_f64 v[14:15], v[14:15], v[44:45], v[229:230]
	v_fma_f64 v[8:9], v[8:9], v[52:53], v[231:232]
	v_fma_f64 v[32:33], v[98:99], v[32:33], -v[34:35]
	v_fma_f64 v[34:35], v[102:103], v[36:37], -v[38:39]
	;; [unrolled: 1-line block ×3, first 2 shown]
	v_add_f64_e32 v[40:41], v[140:141], v[150:151]
	v_fma_f64 v[16:17], v[92:93], v[16:17], -v[158:159]
	v_fma_f64 v[20:21], v[94:95], v[20:21], -v[156:157]
	;; [unrolled: 1-line block ×4, first 2 shown]
	v_add_f64_e32 v[44:45], v[142:143], v[154:155]
	v_add_f64_e64 v[98:99], v[138:139], -v[134:135]
	v_add_f64_e32 v[104:105], v[130:131], v[148:149]
	v_add_f64_e32 v[102:103], v[112:113], v[146:147]
	;; [unrolled: 1-line block ×4, first 2 shown]
	v_fma_f64 v[28:29], v[96:97], v[28:29], -v[78:79]
	v_add_f64_e32 v[96:97], v[132:133], v[140:141]
	v_add_f64_e32 v[106:107], v[128:129], v[30:31]
	v_fma_f64 v[24:25], v[100:101], v[24:25], -v[80:81]
	v_add_f64_e32 v[100:101], v[114:115], v[142:143]
	v_fma_f64 v[82:83], v[4:5], v[56:57], v[82:83]
	v_add_f64_e32 v[108:109], v[124:125], v[18:19]
	v_fma_f64 v[10:11], v[110:111], v[48:49], -v[10:11]
	v_fma_f64 v[50:51], v[6:7], v[60:61], v[50:51]
	ds_load_2addr_b64 v[4:7], v211 offset0:92 offset1:173
	v_fma_f64 v[48:49], v[72:73], v[56:57], -v[58:59]
	v_fma_f64 v[54:55], v[74:75], v[60:61], -v[62:63]
	v_add_f64_e32 v[56:57], v[30:31], v[26:27]
	v_add_f64_e32 v[58:59], v[14:15], v[88:89]
	;; [unrolled: 1-line block ×4, first 2 shown]
	v_add_f64_e64 v[142:143], v[142:143], -v[154:155]
	v_add_f64_e64 v[14:15], v[14:15], -v[88:89]
	v_fma_f64 v[40:41], v[40:41], -0.5, v[132:133]
	v_add_f64_e64 v[132:133], v[136:137], -v[84:85]
	v_fma_f64 v[44:45], v[44:45], -0.5, v[114:115]
	v_add_f64_e64 v[114:115], v[86:87], -v[16:17]
	v_add_f64_e32 v[104:105], v[104:105], v[76:77]
	v_add_f64_e64 v[76:77], v[148:149], -v[76:77]
	v_add_f64_e32 v[148:149], v[36:37], v[42:43]
	v_add_f64_e32 v[102:103], v[102:103], v[152:153]
	s_wait_loadcnt_dscnt 0x100
	v_mul_f64_e32 v[90:91], v[4:5], v[66:67]
	s_wait_loadcnt 0x0
	v_mul_f64_e32 v[221:222], v[6:7], v[70:71]
	v_fma_f64 v[46:47], v[46:47], -0.5, v[112:113]
	v_add_f64_e64 v[112:113], v[144:145], -v[20:21]
	v_fma_f64 v[52:53], v[52:53], -0.5, v[130:131]
	v_add_f64_e32 v[96:97], v[96:97], v[150:151]
	v_add_f64_e32 v[106:107], v[106:107], v[26:27]
	v_add_f64_e64 v[130:131], v[28:29], -v[24:25]
	v_add_f64_e32 v[100:101], v[100:101], v[154:155]
	v_add_f64_e32 v[158:159], v[118:119], v[82:83]
	;; [unrolled: 1-line block ×3, first 2 shown]
	v_add_f64_e64 v[26:27], v[30:31], -v[26:27]
	v_fma_f64 v[56:57], v[56:57], -0.5, v[128:129]
	v_add_f64_e64 v[128:129], v[32:33], -v[34:35]
	v_fma_f64 v[58:59], v[58:59], -0.5, v[120:121]
	v_add_f64_e32 v[110:111], v[110:111], v[8:9]
	v_fma_f64 v[90:91], v[0:1], v[64:65], v[90:91]
	v_fma_f64 v[221:222], v[2:3], v[68:69], v[221:222]
	v_mul_f64_e32 v[0:1], v[0:1], v[66:67]
	v_mul_f64_e32 v[2:3], v[2:3], v[70:71]
	v_and_b32_e32 v66, 0xffff, v171
	v_lshlrev_b32_e32 v67, 3, v173
	v_lshlrev_b32_e32 v70, 3, v181
	;; [unrolled: 1-line block ×3, first 2 shown]
	s_delay_alu instid0(VALU_DEP_4) | instskip(NEXT) | instid1(VALU_DEP_1)
	v_mul_u32_u24_e32 v66, 0x2d0, v66
	v_add3_u32 v223, 0, v66, v67
	v_and_b32_e32 v66, 0xffff, v170
	v_lshlrev_b32_e32 v67, 3, v172
	v_add_f64_e32 v[170:171], v[116:117], v[50:51]
	v_add_f64_e32 v[172:173], v[136:137], v[84:85]
	s_delay_alu instid0(VALU_DEP_4) | instskip(NEXT) | instid1(VALU_DEP_1)
	v_mul_u32_u24_e32 v66, 0x2d0, v66
	v_add3_u32 v224, 0, v66, v67
	v_and_b32_e32 v66, 0xffff, v175
	v_lshlrev_b32_e32 v67, 3, v177
	s_delay_alu instid0(VALU_DEP_2) | instskip(NEXT) | instid1(VALU_DEP_1)
	v_mul_u32_u24_e32 v66, 0x2d0, v66
	v_add3_u32 v225, 0, v66, v67
	v_mul_u32_u24_e32 v66, 0x2d0, v174
	v_add_f64_e32 v[60:61], v[82:83], v[90:91]
	v_add_f64_e32 v[62:63], v[50:51], v[221:222]
	v_fma_f64 v[0:1], v[4:5], v[64:65], -v[0:1]
	v_add_f64_e32 v[4:5], v[18:19], v[22:23]
	v_fma_f64 v[2:3], v[6:7], v[68:69], -v[2:3]
	v_add_f64_e32 v[6:7], v[12:13], v[8:9]
	v_lshlrev_b32_e32 v67, 3, v176
	v_add_f64_e32 v[154:155], v[158:159], v[90:91]
	v_fma_f64 v[158:159], v[98:99], s[4:5], v[40:41]
	v_fma_f64 v[40:41], v[98:99], s[10:11], v[40:41]
	;; [unrolled: 1-line block ×3, first 2 shown]
	v_add3_u32 v226, 0, v66, v67
	v_mul_u32_u24_e32 v66, 0x2d0, v179
	v_lshlrev_b32_e32 v67, 3, v219
	v_fma_f64 v[44:45], v[132:133], s[10:11], v[44:45]
	v_fma_f64 v[132:133], v[114:115], s[4:5], v[46:47]
	;; [unrolled: 1-line block ×4, first 2 shown]
	v_add3_u32 v219, 0, v66, v67
	v_mul_u32_u24_e32 v66, 0x2d0, v178
	v_lshlrev_b32_e32 v67, 3, v218
	v_fma_f64 v[52:53], v[112:113], s[10:11], v[52:53]
	v_fma_f64 v[112:113], v[130:131], s[4:5], v[56:57]
	v_fma_f64 v[56:57], v[130:131], s[10:11], v[56:57]
	v_add_f64_e32 v[174:175], v[86:87], v[16:17]
	v_add3_u32 v218, 0, v66, v67
	v_mul_u32_u24_e32 v66, 0x2d0, v217
	v_lshlrev_b32_e32 v67, 3, v220
	v_add_f64_e32 v[176:177], v[144:145], v[20:21]
	v_add_f64_e32 v[178:179], v[28:29], v[24:25]
	v_add_f64_e64 v[18:19], v[18:19], -v[22:23]
	v_add_f64_e64 v[8:9], v[12:13], -v[8:9]
	v_add3_u32 v217, 0, v66, v67
	v_mul_u32_u24_e32 v66, 0x2d0, v215
	v_lshlrev_b32_e32 v67, 3, v216
	v_add_f64_e64 v[50:51], v[50:51], -v[221:222]
	v_fma_f64 v[60:61], v[60:61], -0.5, v[118:119]
	v_fma_f64 v[62:63], v[62:63], -0.5, v[116:117]
	v_add_f64_e64 v[120:121], v[48:49], -v[0:1]
	v_fma_f64 v[4:5], v[4:5], -0.5, v[124:125]
	v_add_f64_e64 v[124:125], v[36:37], -v[42:43]
	;; [unrolled: 2-line block ×3, first 2 shown]
	v_add_f64_e64 v[118:119], v[54:55], -v[2:3]
	v_add_f64_e64 v[116:117], v[140:141], -v[150:151]
	v_add_f64_e32 v[140:141], v[138:139], v[134:135]
	v_add_f64_e32 v[150:151], v[156:157], v[88:89]
	;; [unrolled: 1-line block ×4, first 2 shown]
	v_add3_u32 v215, 0, v66, v67
	v_mul_u32_u24_e32 v67, 0x2d0, v180
	v_add_f64_e32 v[180:181], v[54:55], v[2:3]
	v_mul_u32_u24_e32 v66, 0x2d0, v245
	s_delay_alu instid0(VALU_DEP_3) | instskip(NEXT) | instid1(VALU_DEP_2)
	v_add3_u32 v216, 0, v67, v71
	v_add3_u32 v214, 0, v66, v70
	ds_load_b64 v[66:67], v213
	ds_load_b64 v[70:71], v212
	;; [unrolled: 1-line block ×10, first 2 shown]
	global_wb scope:SCOPE_SE
	s_wait_dscnt 0x0
	s_barrier_signal -1
	s_barrier_wait -1
	global_inv scope:SCOPE_SE
	v_add_f64_e32 v[138:139], v[64:65], v[138:139]
	v_add_f64_e32 v[144:145], v[68:69], v[144:145]
	v_fma_f64 v[68:69], v[176:177], -0.5, v[68:69]
	v_add_f64_e32 v[28:29], v[72:73], v[28:29]
	v_add_f64_e32 v[22:23], v[78:79], v[36:37]
	v_fma_f64 v[130:131], v[128:129], s[4:5], v[4:5]
	v_fma_f64 v[4:5], v[128:129], s[10:11], v[4:5]
	v_fma_f64 v[128:129], v[124:125], s[4:5], v[6:7]
	v_fma_f64 v[6:7], v[124:125], s[10:11], v[6:7]
	v_fma_f64 v[124:125], v[122:123], s[4:5], v[58:59]
	v_fma_f64 v[58:59], v[122:123], s[10:11], v[58:59]
	v_fma_f64 v[122:123], v[120:121], s[4:5], v[60:61]
	v_fma_f64 v[60:61], v[120:121], s[10:11], v[60:61]
	v_fma_f64 v[120:121], v[118:119], s[4:5], v[62:63]
	v_fma_f64 v[62:63], v[118:119], s[10:11], v[62:63]
	v_add_f64_e64 v[118:119], v[146:147], -v[152:153]
	v_add_f64_e32 v[152:153], v[38:39], v[10:11]
	v_add_f64_e32 v[146:147], v[32:33], v[34:35]
	v_fma_f64 v[30:31], v[140:141], -0.5, v[64:65]
	ds_store_2addr_b64 v223, v[96:97], v[158:159] offset1:30
	ds_store_b64 v223, v[40:41] offset:480
	ds_store_2addr_b64 v224, v[100:101], v[98:99] offset1:30
	ds_store_b64 v224, v[44:45] offset:480
	;; [unrolled: 2-line block ×10, first 2 shown]
	v_add_f64_e32 v[4:5], v[74:75], v[32:33]
	v_fma_f64 v[32:33], v[148:149], -0.5, v[78:79]
	v_add_f64_e32 v[136:137], v[66:67], v[136:137]
	v_fma_f64 v[66:67], v[172:173], -0.5, v[66:67]
	v_add_f64_e32 v[12:13], v[80:81], v[38:39]
	v_add_f64_e32 v[86:87], v[70:71], v[86:87]
	v_fma_f64 v[70:71], v[174:175], -0.5, v[70:71]
	v_fma_f64 v[72:73], v[178:179], -0.5, v[72:73]
	v_add_f64_e32 v[38:39], v[92:93], v[48:49]
	v_fma_f64 v[40:41], v[170:171], -0.5, v[92:93]
	v_add_f64_e64 v[44:45], v[82:83], -v[90:91]
	v_add_f64_e32 v[46:47], v[94:95], v[54:55]
	v_fma_f64 v[48:49], v[180:181], -0.5, v[94:95]
	v_add_f64_e32 v[64:65], v[138:139], v[134:135]
	v_add_f64_e32 v[42:43], v[22:23], v[42:43]
	v_fma_f64 v[78:79], v[76:77], s[10:11], v[68:69]
	v_fma_f64 v[68:69], v[76:77], s[4:5], v[68:69]
	v_add_f64_e32 v[76:77], v[28:29], v[24:25]
	v_dual_mov_b32 v141, 0 :: v_dual_lshlrev_b32 v140, 1, v198
	v_fma_f64 v[36:37], v[152:153], -0.5, v[80:81]
	v_fma_f64 v[6:7], v[146:147], -0.5, v[74:75]
	v_fma_f64 v[52:53], v[116:117], s[10:11], v[30:31]
	v_fma_f64 v[54:55], v[116:117], s[4:5], v[30:31]
	v_add_f64_e32 v[74:75], v[144:145], v[20:21]
	global_wb scope:SCOPE_SE
	s_wait_dscnt 0x0
	s_barrier_signal -1
	s_barrier_wait -1
	global_inv scope:SCOPE_SE
	ds_load_b64 v[130:131], v213
	ds_load_b64 v[128:129], v212
	;; [unrolled: 1-line block ×6, first 2 shown]
	v_add_f64_e32 v[82:83], v[4:5], v[34:35]
	v_fma_f64 v[88:89], v[8:9], s[10:11], v[32:33]
	v_fma_f64 v[90:91], v[8:9], s[4:5], v[32:33]
	v_add_f64_e32 v[56:57], v[136:137], v[84:85]
	v_fma_f64 v[58:59], v[142:143], s[10:11], v[66:67]
	v_add_f64_e32 v[92:93], v[12:13], v[10:11]
	;; [unrolled: 2-line block ×3, first 2 shown]
	v_fma_f64 v[66:67], v[118:119], s[10:11], v[70:71]
	v_fma_f64 v[70:71], v[118:119], s[4:5], v[70:71]
	;; [unrolled: 1-line block ×4, first 2 shown]
	v_add_f64_e32 v[98:99], v[38:39], v[0:1]
	v_fma_f64 v[100:101], v[44:45], s[10:11], v[40:41]
	v_fma_f64 v[40:41], v[44:45], s[4:5], v[40:41]
	v_add_f64_e32 v[44:45], v[46:47], v[2:3]
	v_fma_f64 v[46:47], v[50:51], s[10:11], v[48:49]
	v_fma_f64 v[48:49], v[50:51], s[4:5], v[48:49]
	v_add_nc_u32_e32 v50, -9, v198
	v_fma_f64 v[94:95], v[14:15], s[10:11], v[36:37]
	v_fma_f64 v[96:97], v[14:15], s[4:5], v[36:37]
	;; [unrolled: 1-line block ×4, first 2 shown]
	ds_load_b64 v[144:145], v205
	ds_load_b64 v[142:143], v206
	;; [unrolled: 1-line block ×4, first 2 shown]
	ds_load_2addr_b64 v[36:39], v192 offset0:42 offset1:123
	ds_load_2addr_b64 v[32:35], v193 offset0:84 offset1:165
	;; [unrolled: 1-line block ×10, first 2 shown]
	global_wb scope:SCOPE_SE
	s_wait_dscnt 0x0
	s_barrier_signal -1
	s_barrier_wait -1
	global_inv scope:SCOPE_SE
	ds_store_2addr_b64 v223, v[64:65], v[52:53] offset1:30
	ds_store_b64 v223, v[54:55] offset:480
	ds_store_2addr_b64 v224, v[56:57], v[58:59] offset1:30
	ds_store_b64 v224, v[60:61] offset:480
	;; [unrolled: 2-line block ×8, first 2 shown]
	v_lshlrev_b64_e32 v[42:43], 4, v[140:141]
	s_wait_alu 0xf1ff
	v_cndmask_b32_e64 v148, v50, v185, s0
	ds_store_2addr_b64 v214, v[98:99], v[100:101] offset1:30
	ds_store_b64 v214, v[40:41] offset:480
	ds_store_2addr_b64 v216, v[44:45], v[46:47] offset1:30
	ds_store_b64 v216, v[48:49] offset:480
	v_mov_b32_e32 v41, v141
	global_wb scope:SCOPE_SE
	s_wait_dscnt 0x0
	v_add_co_u32 v132, s0, s8, v42
	v_mul_lo_u16 v42, 0xb7, v168
	v_lshlrev_b32_e32 v40, 1, v148
	s_wait_alu 0xf1ff
	v_add_co_ci_u32_e64 v133, s0, s9, v43, s0
	s_barrier_signal -1
	v_lshrrev_b16 v149, 14, v42
	v_mul_u32_u24_e32 v42, 0x2d83, v167
	v_lshlrev_b64_e32 v[40:41], 4, v[40:41]
	s_barrier_wait -1
	global_inv scope:SCOPE_SE
	s_clause 0x1
	global_load_b128 v[92:95], v[132:133], off offset:1280
	global_load_b128 v[68:71], v[132:133], off offset:1296
	v_lshrrev_b32_e32 v151, 20, v42
	v_add_co_u32 v40, s0, s8, v40
	v_mul_lo_u16 v42, 0x5a, v149
	s_wait_alu 0xf1ff
	v_add_co_ci_u32_e64 v41, s0, s9, v41, s0
	v_mul_lo_u16 v43, 0x5a, v151
	v_mul_u32_u24_e32 v49, 0x2d83, v162
	v_sub_nc_u16 v42, v188, v42
	s_clause 0x1
	global_load_b128 v[64:67], v[40:41], off offset:1280
	global_load_b128 v[60:63], v[40:41], off offset:1296
	v_sub_nc_u16 v43, v182, v43
	v_mul_u32_u24_e32 v50, 0x2d83, v163
	v_and_b32_e32 v147, 0xff, v42
	v_mul_u32_u24_e32 v42, 0x2d83, v166
	v_lshrrev_b32_e32 v226, 20, v49
	v_and_b32_e32 v146, 0xffff, v43
	v_mul_u32_u24_e32 v43, 0x2d83, v169
	v_lshlrev_b32_e32 v40, 5, v147
	v_lshrrev_b32_e32 v155, 20, v42
	v_mul_u32_u24_e32 v49, 0x2d83, v164
	v_lshlrev_b32_e32 v41, 5, v146
	s_clause 0x1
	global_load_b128 v[52:55], v40, s[8:9] offset:1280
	global_load_b128 v[44:47], v41, s[8:9] offset:1280
	v_lshrrev_b32_e32 v153, 20, v43
	v_mul_lo_u16 v42, 0x5a, v155
	global_load_b128 v[116:119], v40, s[8:9] offset:1296
	v_mul_u32_u24_e32 v57, 0x2d83, v165
	v_lshrrev_b32_e32 v227, 20, v50
	v_mul_lo_u16 v43, 0x5a, v153
	v_sub_nc_u16 v42, v186, v42
	v_lshrrev_b32_e32 v228, 20, v49
	v_lshrrev_b32_e32 v57, 20, v57
	v_mul_lo_u16 v50, 0x5a, v226
	v_sub_nc_u16 v48, v189, v43
	v_and_b32_e32 v152, 0xffff, v42
	v_mul_lo_u16 v51, 0x5a, v227
	v_mul_lo_u16 v59, 0x5a, v228
	;; [unrolled: 1-line block ×3, first 2 shown]
	v_and_b32_e32 v154, 0xffff, v48
	v_lshlrev_b32_e32 v48, 5, v152
	v_sub_nc_u16 v49, v183, v50
	v_sub_nc_u16 v58, v187, v51
	;; [unrolled: 1-line block ×3, first 2 shown]
	v_lshlrev_b32_e32 v56, 5, v154
	s_clause 0x1
	global_load_b128 v[108:111], v48, s[8:9] offset:1280
	global_load_b128 v[40:43], v41, s[8:9] offset:1296
	v_sub_nc_u16 v80, v184, v72
	v_and_b32_e32 v229, 0xffff, v49
	s_clause 0x1
	global_load_b128 v[48:51], v48, s[8:9] offset:1296
	global_load_b128 v[96:99], v56, s[8:9] offset:1280
	v_and_b32_e32 v230, 0xffff, v58
	v_and_b32_e32 v231, 0xffff, v73
	;; [unrolled: 1-line block ×3, first 2 shown]
	v_lshlrev_b32_e32 v74, 5, v229
	global_load_b128 v[56:59], v56, s[8:9] offset:1296
	v_lshlrev_b32_e32 v84, 5, v230
	v_lshlrev_b32_e32 v100, 5, v231
	;; [unrolled: 1-line block ×3, first 2 shown]
	s_clause 0x1
	global_load_b128 v[76:79], v74, s[8:9] offset:1280
	global_load_b128 v[72:75], v74, s[8:9] offset:1296
	v_mul_u32_u24_e32 v232, 0x870, v155
	s_clause 0x5
	global_load_b128 v[80:83], v84, s[8:9] offset:1280
	global_load_b128 v[84:87], v84, s[8:9] offset:1296
	;; [unrolled: 1-line block ×6, first 2 shown]
	ds_load_2addr_b64 v[156:159], v192 offset0:42 offset1:123
	ds_load_2addr_b64 v[166:169], v193 offset0:84 offset1:165
	;; [unrolled: 1-line block ×4, first 2 shown]
	v_mul_u32_u24_e32 v234, 0x870, v226
	v_mul_u32_u24_e32 v235, 0x870, v227
	v_cmp_lt_u32_e64 s0, 8, v198
	v_mul_u32_u24_e32 v151, 0x870, v151
	v_lshlrev_b32_e32 v147, 3, v147
	v_lshlrev_b32_e32 v146, 3, v146
	;; [unrolled: 1-line block ×3, first 2 shown]
	v_mul_u32_u24_e32 v233, 0x870, v153
	v_mul_u32_u24_e32 v228, 0x870, v228
	v_lshl_add_u32 v240, v150, 3, 0
	v_add3_u32 v237, 0, v151, v146
	v_add3_u32 v238, 0, v232, v152
	s_delay_alu instid0(VALU_DEP_3)
	v_add_nc_u32_e32 v242, 0x4000, v240
	s_wait_loadcnt_dscnt 0x1303
	v_mul_f64_e32 v[178:179], v[156:157], v[94:95]
	v_mul_f64_e32 v[94:95], v[36:37], v[94:95]
	s_wait_loadcnt_dscnt 0x1202
	v_mul_f64_e32 v[214:215], v[166:167], v[70:71]
	v_mul_f64_e32 v[70:71], v[32:33], v[70:71]
	s_wait_loadcnt 0x11
	v_mul_f64_e32 v[180:181], v[158:159], v[66:67]
	s_wait_loadcnt 0x10
	v_mul_f64_e32 v[216:217], v[168:169], v[62:63]
	v_mul_f64_e32 v[218:219], v[34:35], v[62:63]
	;; [unrolled: 1-line block ×3, first 2 shown]
	s_wait_alu 0xf1ff
	v_cndmask_b32_e64 v62, 0, 0x870, s0
	s_wait_loadcnt_dscnt 0xf01
	v_mul_f64_e32 v[220:221], v[170:171], v[54:55]
	v_mul_f64_e32 v[222:223], v[28:29], v[54:55]
	s_wait_loadcnt 0xe
	v_mul_f64_e32 v[224:225], v[172:173], v[46:47]
	v_lshlrev_b32_e32 v54, 3, v148
	v_and_b32_e32 v55, 0xffff, v149
	v_mul_f64_e32 v[46:47], v[30:31], v[46:47]
	s_delay_alu instid0(VALU_DEP_3) | instskip(NEXT) | instid1(VALU_DEP_3)
	v_add3_u32 v54, 0, v62, v54
	v_mul_u32_u24_e32 v55, 0x870, v55
	v_fma_f64 v[148:149], v[36:37], v[92:93], v[178:179]
	v_fma_f64 v[155:156], v[156:157], v[92:93], -v[94:95]
	ds_load_2addr_b64 v[92:95], v202 offset0:110 offset1:191
	v_fma_f64 v[70:71], v[166:167], v[68:69], -v[70:71]
	v_fma_f64 v[214:215], v[32:33], v[68:69], v[214:215]
	v_add3_u32 v236, 0, v55, v147
	v_lshlrev_b32_e32 v55, 3, v230
	v_fma_f64 v[178:179], v[38:39], v[64:65], v[180:181]
	s_wait_loadcnt_dscnt 0xd01
	v_mul_f64_e32 v[180:181], v[174:175], v[118:119]
	v_mul_f64_e32 v[118:119], v[24:25], v[118:119]
	s_wait_loadcnt 0xb
	v_mul_f64_e32 v[226:227], v[176:177], v[42:43]
	v_mul_f64_e32 v[42:43], v[26:27], v[42:43]
	v_fma_f64 v[166:167], v[34:35], v[60:61], v[216:217]
	v_fma_f64 v[60:61], v[168:169], v[60:61], -v[218:219]
	v_fma_f64 v[157:158], v[158:159], v[64:65], -v[66:67]
	ds_load_2addr_b64 v[36:39], v203 offset0:152 offset1:233
	ds_load_2addr_b64 v[62:65], v191 offset0:16 offset1:97
	ds_load_2addr_b64 v[32:35], v207 offset0:58 offset1:139
	s_wait_dscnt 0x3
	v_mul_f64_e32 v[168:169], v[92:93], v[110:111]
	v_mul_f64_e32 v[110:111], v[20:21], v[110:111]
	ds_load_2addr_b64 v[66:69], v210 offset0:50 offset1:131
	v_lshlrev_b32_e32 v159, 3, v154
	v_fma_f64 v[216:217], v[28:29], v[52:53], v[220:221]
	v_fma_f64 v[52:53], v[170:171], v[52:53], -v[222:223]
	s_wait_loadcnt 0x9
	v_mul_f64_e32 v[170:171], v[94:95], v[98:99]
	v_mul_f64_e32 v[98:99], v[22:23], v[98:99]
	v_fma_f64 v[218:219], v[30:31], v[44:45], v[224:225]
	ds_load_2addr_b64 v[28:31], v211 offset0:92 offset1:173
	v_fma_f64 v[44:45], v[172:173], v[44:45], -v[46:47]
	v_add3_u32 v235, 0, v235, v55
	v_lshlrev_b32_e32 v224, 3, v229
	v_add3_u32 v239, 0, v233, v159
	v_lshlrev_b32_e32 v159, 3, v231
	s_wait_dscnt 0x4
	v_mul_f64_e32 v[146:147], v[36:37], v[50:51]
	s_wait_loadcnt 0x8
	v_mul_f64_e32 v[46:47], v[38:39], v[58:59]
	s_wait_loadcnt_dscnt 0x703
	v_mul_f64_e32 v[151:152], v[62:63], v[78:79]
	s_wait_loadcnt 0x5
	v_mul_f64_e32 v[153:154], v[64:65], v[82:83]
	s_wait_dscnt 0x2
	v_mul_f64_e32 v[172:173], v[32:33], v[74:75]
	s_wait_loadcnt 0x4
	v_mul_f64_e32 v[220:221], v[34:35], v[86:87]
	v_mul_f64_e32 v[74:75], v[8:9], v[74:75]
	;; [unrolled: 1-line block ×3, first 2 shown]
	v_add3_u32 v234, 0, v234, v224
	v_add3_u32 v241, 0, v228, v159
	v_fma_f64 v[24:25], v[24:25], v[116:117], v[180:181]
	v_fma_f64 v[116:117], v[174:175], v[116:117], -v[118:119]
	s_wait_loadcnt_dscnt 0x301
	v_mul_f64_e32 v[118:119], v[66:67], v[90:91]
	s_wait_loadcnt_dscnt 0x200
	v_mul_f64_e32 v[174:175], v[28:29], v[102:103]
	s_wait_loadcnt 0x1
	v_mul_f64_e32 v[180:181], v[68:69], v[106:107]
	s_wait_loadcnt 0x0
	v_mul_f64_e32 v[222:223], v[30:31], v[114:115]
	v_fma_f64 v[26:27], v[26:27], v[40:41], v[226:227]
	v_fma_f64 v[40:41], v[176:177], v[40:41], -v[42:43]
	v_mul_f64_e32 v[42:43], v[16:17], v[50:51]
	v_mul_f64_e32 v[50:51], v[18:19], v[58:59]
	;; [unrolled: 1-line block ×4, first 2 shown]
	v_fma_f64 v[82:83], v[92:93], v[108:109], -v[110:111]
	v_mul_f64_e32 v[90:91], v[0:1], v[90:91]
	v_mul_f64_e32 v[92:93], v[2:3], v[106:107]
	v_fma_f64 v[20:21], v[20:21], v[108:109], v[168:169]
	v_fma_f64 v[22:23], v[22:23], v[96:97], v[170:171]
	v_fma_f64 v[94:95], v[94:95], v[96:97], -v[98:99]
	v_mul_f64_e32 v[98:99], v[6:7], v[114:115]
	v_mul_f64_e32 v[96:97], v[4:5], v[102:103]
	ds_load_b64 v[102:103], v213
	ds_load_b64 v[106:107], v212
	v_add_f64_e64 v[170:171], v[178:179], -v[166:167]
	v_fma_f64 v[16:17], v[16:17], v[48:49], v[146:147]
	v_fma_f64 v[18:19], v[18:19], v[56:57], v[46:47]
	v_fma_f64 v[12:13], v[12:13], v[76:77], v[151:152]
	v_fma_f64 v[14:15], v[14:15], v[80:81], v[153:154]
	v_fma_f64 v[8:9], v[8:9], v[72:73], v[172:173]
	v_fma_f64 v[10:11], v[10:11], v[84:85], v[220:221]
	v_fma_f64 v[32:33], v[32:33], v[72:73], -v[74:75]
	v_fma_f64 v[34:35], v[34:35], v[84:85], -v[86:87]
	ds_load_b64 v[46:47], v196
	ds_load_b64 v[108:109], v197
	;; [unrolled: 1-line block ×4, first 2 shown]
	v_add_f64_e32 v[172:173], v[155:156], v[70:71]
	v_add_f64_e32 v[72:73], v[128:129], v[216:217]
	v_add_f64_e64 v[176:177], v[216:217], -v[24:25]
	v_fma_f64 v[0:1], v[0:1], v[88:89], v[118:119]
	v_fma_f64 v[4:5], v[4:5], v[100:101], v[174:175]
	;; [unrolled: 1-line block ×4, first 2 shown]
	v_add_f64_e32 v[74:75], v[218:219], v[26:27]
	v_add_f64_e32 v[174:175], v[157:158], v[60:61]
	v_fma_f64 v[36:37], v[36:37], v[48:49], -v[42:43]
	v_fma_f64 v[38:39], v[38:39], v[56:57], -v[50:51]
	;; [unrolled: 1-line block ×4, first 2 shown]
	v_add_f64_e32 v[62:63], v[134:135], v[148:149]
	v_fma_f64 v[50:51], v[66:67], v[88:89], -v[90:91]
	v_fma_f64 v[55:56], v[68:69], v[104:105], -v[92:93]
	v_add_f64_e32 v[66:67], v[130:131], v[178:179]
	v_add_f64_e32 v[64:65], v[178:179], v[166:167]
	;; [unrolled: 1-line block ×3, first 2 shown]
	v_fma_f64 v[30:31], v[30:31], v[112:113], -v[98:99]
	v_fma_f64 v[28:29], v[28:29], v[100:101], -v[96:97]
	v_add_f64_e32 v[68:69], v[216:217], v[24:25]
	v_add_f64_e32 v[76:77], v[124:125], v[218:219]
	;; [unrolled: 1-line block ×4, first 2 shown]
	v_add_f64_e64 v[112:113], v[148:149], -v[214:215]
	v_add_f64_e32 v[180:181], v[52:53], v[116:117]
	v_add_f64_e32 v[220:221], v[44:45], v[40:41]
	;; [unrolled: 1-line block ×5, first 2 shown]
	s_wait_dscnt 0x2
	v_add_f64_e32 v[222:223], v[108:109], v[44:45]
	v_add_f64_e32 v[90:91], v[12:13], v[8:9]
	;; [unrolled: 1-line block ×3, first 2 shown]
	s_wait_dscnt 0x1
	v_add_f64_e32 v[226:227], v[110:111], v[82:83]
	ds_load_b64 v[118:119], v205
	ds_load_b64 v[146:147], v206
	;; [unrolled: 1-line block ×4, first 2 shown]
	v_add_f64_e64 v[88:89], v[155:156], -v[70:71]
	v_add_f64_e32 v[154:155], v[46:47], v[155:156]
	v_fma_f64 v[46:47], v[172:173], -0.5, v[46:47]
	v_add_f64_e32 v[98:99], v[142:143], v[14:15]
	v_add_f64_e32 v[178:179], v[102:103], v[157:158]
	;; [unrolled: 1-line block ×4, first 2 shown]
	v_add_f64_e64 v[216:217], v[218:219], -v[26:27]
	v_add_f64_e32 v[148:149], v[2:3], v[6:7]
	v_add_f64_e32 v[218:219], v[106:107], v[52:53]
	v_add_f64_e64 v[20:21], v[20:21], -v[16:17]
	v_add_f64_e32 v[224:225], v[82:83], v[36:37]
	v_add_f64_e32 v[228:229], v[94:95], v[38:39]
	;; [unrolled: 1-line block ×3, first 2 shown]
	v_add_f64_e64 v[22:23], v[22:23], -v[18:19]
	v_add_f64_e32 v[62:63], v[62:63], v[214:215]
	v_add_f64_e32 v[214:215], v[48:49], v[34:35]
	v_add_f64_e64 v[12:13], v[12:13], -v[8:9]
	v_add_f64_e32 v[66:67], v[66:67], v[166:167]
	v_fma_f64 v[64:65], v[64:65], -0.5, v[130:131]
	v_fma_f64 v[57:58], v[57:58], -0.5, v[134:135]
	v_add_f64_e32 v[166:167], v[55:56], v[30:31]
	v_add_f64_e32 v[130:131], v[50:51], v[28:29]
	s_wait_dscnt 0x3
	v_add_f64_e32 v[134:135], v[118:119], v[42:43]
	v_fma_f64 v[68:69], v[68:69], -0.5, v[128:129]
	s_wait_dscnt 0x2
	v_add_f64_e32 v[128:129], v[146:147], v[48:49]
	v_add_f64_e32 v[230:231], v[114:115], v[94:95]
	v_add_f64_e32 v[24:25], v[72:73], v[24:25]
	s_wait_dscnt 0x1
	v_add_f64_e32 v[72:73], v[150:151], v[50:51]
	v_fma_f64 v[74:75], v[74:75], -0.5, v[124:125]
	s_wait_dscnt 0x0
	v_add_f64_e32 v[124:125], v[152:153], v[55:56]
	v_add_f64_e64 v[156:157], v[157:158], -v[60:61]
	v_add_f64_e64 v[52:53], v[52:53], -v[116:117]
	;; [unrolled: 1-line block ×8, first 2 shown]
	v_add_f64_e32 v[26:27], v[76:77], v[26:27]
	v_fma_f64 v[76:77], v[78:79], -0.5, v[122:123]
	v_add_f64_e32 v[16:17], v[80:81], v[16:17]
	v_fma_f64 v[78:79], v[84:85], -0.5, v[120:121]
	;; [unrolled: 2-line block ×4, first 2 shown]
	v_fma_f64 v[86:87], v[100:101], -0.5, v[138:139]
	v_fma_f64 v[90:91], v[148:149], -0.5, v[136:137]
	;; [unrolled: 1-line block ×3, first 2 shown]
	v_add_f64_e64 v[94:95], v[94:95], -v[38:39]
	v_fma_f64 v[96:97], v[180:181], -0.5, v[106:107]
	v_fma_f64 v[100:101], v[220:221], -0.5, v[108:109]
	v_add_f64_e32 v[102:103], v[222:223], v[40:41]
	v_fma_f64 v[40:41], v[224:225], -0.5, v[110:111]
	v_add_f64_e64 v[0:1], v[0:1], -v[4:5]
	v_add_f64_e32 v[4:5], v[104:105], v[4:5]
	v_add_f64_e32 v[104:105], v[226:227], v[36:37]
	v_fma_f64 v[36:37], v[228:229], -0.5, v[114:115]
	v_fma_f64 v[106:107], v[232:233], -0.5, v[118:119]
	v_add_f64_e32 v[168:169], v[136:137], v[2:3]
	v_add_f64_e64 v[14:15], v[14:15], -v[10:11]
	v_add_f64_e64 v[2:3], v[2:3], -v[6:7]
	v_fma_f64 v[108:109], v[214:215], -0.5, v[146:147]
	v_fma_f64 v[114:115], v[166:167], -0.5, v[152:153]
	;; [unrolled: 1-line block ×3, first 2 shown]
	v_add_f64_e32 v[70:71], v[154:155], v[70:71]
	v_add_f64_e32 v[118:119], v[134:135], v[32:33]
	;; [unrolled: 1-line block ×3, first 2 shown]
	v_fma_f64 v[32:33], v[88:89], s[4:5], v[57:58]
	v_fma_f64 v[34:35], v[88:89], s[10:11], v[57:58]
	v_fma_f64 v[88:89], v[112:113], s[10:11], v[46:47]
	v_fma_f64 v[46:47], v[112:113], s[4:5], v[46:47]
	v_add_f64_e32 v[10:11], v[98:99], v[10:11]
	v_add_f64_e32 v[59:60], v[178:179], v[60:61]
	;; [unrolled: 1-line block ×5, first 2 shown]
	v_fma_f64 v[38:39], v[156:157], s[4:5], v[64:65]
	v_fma_f64 v[57:58], v[156:157], s[10:11], v[64:65]
	v_fma_f64 v[64:65], v[52:53], s[4:5], v[68:69]
	v_fma_f64 v[52:53], v[52:53], s[10:11], v[68:69]
	v_fma_f64 v[68:69], v[44:45], s[4:5], v[74:75]
	v_fma_f64 v[44:45], v[44:45], s[10:11], v[74:75]
	v_fma_f64 v[72:73], v[82:83], s[4:5], v[76:77]
	v_fma_f64 v[74:75], v[82:83], s[10:11], v[76:77]
	v_fma_f64 v[82:83], v[42:43], s[4:5], v[80:81]
	v_fma_f64 v[42:43], v[42:43], s[10:11], v[80:81]
	v_fma_f64 v[80:81], v[48:49], s[4:5], v[84:85]
	v_fma_f64 v[48:49], v[48:49], s[10:11], v[84:85]
	v_fma_f64 v[84:85], v[50:51], s[4:5], v[86:87]
	v_fma_f64 v[50:51], v[50:51], s[10:11], v[86:87]
	v_fma_f64 v[86:87], v[55:56], s[4:5], v[90:91]
	v_fma_f64 v[55:56], v[55:56], s[10:11], v[90:91]
	v_fma_f64 v[90:91], v[170:171], s[10:11], v[92:93]
	v_fma_f64 v[92:93], v[170:171], s[4:5], v[92:93]
	v_fma_f64 v[76:77], v[94:95], s[4:5], v[78:79]
	v_fma_f64 v[78:79], v[94:95], s[10:11], v[78:79]
	v_fma_f64 v[94:95], v[176:177], s[10:11], v[96:97]
	v_fma_f64 v[96:97], v[176:177], s[4:5], v[96:97]
	v_fma_f64 v[112:113], v[216:217], s[10:11], v[100:101]
	v_fma_f64 v[100:101], v[216:217], s[4:5], v[100:101]
	v_fma_f64 v[122:123], v[20:21], s[10:11], v[40:41]
	v_add_f64_e32 v[30:31], v[124:125], v[30:31]
	v_fma_f64 v[124:125], v[20:21], s[4:5], v[40:41]
	v_fma_f64 v[134:135], v[22:23], s[10:11], v[36:37]
	v_fma_f64 v[142:143], v[22:23], s[4:5], v[36:37]
	v_fma_f64 v[156:157], v[12:13], s[10:11], v[106:107]
	v_fma_f64 v[106:107], v[12:13], s[4:5], v[106:107]
	v_add_f64_e32 v[6:7], v[168:169], v[6:7]
	v_fma_f64 v[158:159], v[14:15], s[10:11], v[108:109]
	v_fma_f64 v[168:169], v[2:3], s[10:11], v[114:115]
	;; [unrolled: 1-line block ×6, first 2 shown]
	global_wb scope:SCOPE_SE
	s_barrier_signal -1
	s_barrier_wait -1
	global_inv scope:SCOPE_SE
	ds_store_2addr_b64 v196, v[62:63], v[32:33] offset1:90
	ds_store_b64 v196, v[34:35] offset:1440
	ds_store_2addr_b64 v54, v[66:67], v[38:39] offset1:90
	ds_store_b64 v54, v[57:58] offset:1440
	;; [unrolled: 2-line block ×9, first 2 shown]
	ds_store_2addr_b64 v242, v[6:7], v[86:87] offset0:112 offset1:202
	ds_store_b64 v240, v[55:56] offset:18720
	global_wb scope:SCOPE_SE
	s_wait_dscnt 0x0
	s_barrier_signal -1
	s_barrier_wait -1
	global_inv scope:SCOPE_SE
	ds_load_b64 v[152:153], v213
	ds_load_b64 v[148:149], v212
	;; [unrolled: 1-line block ×10, first 2 shown]
	ds_load_2addr_b64 v[40:43], v192 offset0:42 offset1:123
	ds_load_2addr_b64 v[36:39], v193 offset0:84 offset1:165
	;; [unrolled: 1-line block ×10, first 2 shown]
	global_wb scope:SCOPE_SE
	s_wait_dscnt 0x0
	s_barrier_signal -1
	s_barrier_wait -1
	global_inv scope:SCOPE_SE
	ds_store_2addr_b64 v196, v[70:71], v[88:89] offset1:90
	ds_store_b64 v196, v[46:47] offset:1440
	ds_store_2addr_b64 v54, v[59:60], v[90:91] offset1:90
	ds_store_b64 v54, v[92:93] offset:1440
	;; [unrolled: 2-line block ×9, first 2 shown]
	v_dual_mov_b32 v29, v141 :: v_dual_lshlrev_b32 v28, 1, v185
	ds_store_2addr_b64 v242, v[30:31], v[168:169] offset0:112 offset1:202
	ds_store_b64 v240, v[114:115] offset:18720
	v_lshlrev_b64_e32 v[28:29], 4, v[28:29]
	v_subrev_nc_u32_e32 v30, 27, v198
	global_wb scope:SCOPE_SE
	s_wait_dscnt 0x0
	s_barrier_signal -1
	s_barrier_wait -1
	global_inv scope:SCOPE_SE
	v_add_co_u32 v134, s0, s8, v28
	s_wait_alu 0xf1ff
	v_add_co_ci_u32_e64 v135, s0, s9, v29, s0
	v_cmp_gt_u32_e64 s0, 27, v198
	global_load_b128 v[48:51], v[132:133], off offset:4160
	v_lshlrev_b32_e32 v28, 1, v188
	global_load_b128 v[96:99], v[134:135], off offset:4160
	v_mov_b32_e32 v29, v141
	s_wait_alu 0xf1ff
	v_cndmask_b32_e64 v156, v30, v182, s0
	v_mov_b32_e32 v31, v141
	s_clause 0x1
	global_load_b128 v[104:107], v[132:133], off offset:4176
	global_load_b128 v[88:91], v[134:135], off offset:4176
	v_add_nc_u32_e32 v52, 0x6c, v140
	v_lshlrev_b64_e32 v[28:29], 4, v[28:29]
	v_dual_mov_b32 v53, v141 :: v_dual_lshlrev_b32 v30, 1, v156
	v_add_nc_u32_e32 v140, 0x10e, v140
	v_mul_u32_u24_e32 v57, 0x795d, v163
	v_mul_u32_u24_e32 v56, 0x795d, v162
	s_delay_alu instid0(VALU_DEP_4) | instskip(SKIP_4) | instid1(VALU_DEP_4)
	v_lshlrev_b64_e32 v[30:31], 4, v[30:31]
	v_add_co_u32 v142, s0, s8, v28
	s_wait_alu 0xf1ff
	v_add_co_ci_u32_e64 v143, s0, s9, v29, s0
	v_lshlrev_b64_e32 v[52:53], 4, v[52:53]
	v_add_co_u32 v44, s0, s8, v30
	s_wait_alu 0xf1ff
	v_add_co_ci_u32_e64 v45, s0, s9, v31, s0
	s_clause 0x1
	global_load_b128 v[112:115], v[142:143], off offset:4160
	global_load_b128 v[28:31], v[142:143], off offset:4176
	v_lshlrev_b64_e32 v[54:55], 4, v[140:141]
	s_clause 0x1
	global_load_b128 v[122:125], v[44:45], off offset:4160
	global_load_b128 v[44:47], v[44:45], off offset:4176
	v_lshrrev_b32_e32 v58, 23, v57
	v_mul_u32_u24_e32 v59, 0x795d, v164
	v_mul_u32_u24_e32 v60, 0x795d, v165
	v_lshrrev_b32_e32 v140, 23, v56
	v_add_co_u32 v56, s0, s8, v52
	s_wait_alu 0xf1ff
	v_add_co_ci_u32_e64 v57, s0, s9, v53, s0
	v_mul_lo_u16 v53, 0x10e, v58
	v_lshrrev_b32_e32 v58, 23, v59
	v_lshrrev_b32_e32 v59, 23, v60
	v_add_co_u32 v60, s0, s8, v54
	v_mul_lo_u16 v52, 0x10e, v140
	s_wait_alu 0xf1ff
	v_add_co_ci_u32_e64 v61, s0, s9, v55, s0
	v_sub_nc_u16 v63, v187, v53
	v_mul_lo_u16 v58, 0x10e, v58
	v_sub_nc_u16 v62, v183, v52
	s_clause 0x1
	global_load_b128 v[100:103], v[56:57], off offset:4160
	global_load_b128 v[52:55], v[60:61], off offset:4160
	v_mul_lo_u16 v59, 0x10e, v59
	v_and_b32_e32 v157, 0xffff, v63
	v_cmp_lt_u32_e64 s0, 26, v198
	v_and_b32_e32 v162, 0xffff, v62
	v_sub_nc_u16 v62, v190, v58
	v_sub_nc_u16 v63, v184, v59
	v_lshlrev_b32_e32 v76, 5, v157
	global_load_b128 v[56:59], v[56:57], off offset:4176
	v_lshlrev_b32_e32 v72, 5, v162
	v_and_b32_e32 v158, 0xffff, v62
	v_and_b32_e32 v159, 0xffff, v63
	s_clause 0x2
	global_load_b128 v[64:67], v[60:61], off offset:4176
	global_load_b128 v[60:63], v76, s[8:9] offset:4160
	global_load_b128 v[68:71], v72, s[8:9] offset:4160
	v_mul_u32_u24_e32 v140, 0x1950, v140
	v_lshlrev_b32_e32 v162, 3, v162
	v_lshlrev_b32_e32 v92, 5, v158
	;; [unrolled: 1-line block ×3, first 2 shown]
	s_clause 0x5
	global_load_b128 v[72:75], v72, s[8:9] offset:4176
	global_load_b128 v[76:79], v76, s[8:9] offset:4176
	;; [unrolled: 1-line block ×6, first 2 shown]
	ds_load_2addr_b64 v[163:166], v192 offset0:42 offset1:123
	ds_load_2addr_b64 v[167:170], v193 offset0:84 offset1:165
	;; [unrolled: 1-line block ×4, first 2 shown]
	s_wait_alu 0xf1ff
	v_cndmask_b32_e64 v232, 0, 0x1950, s0
	v_lshlrev_b32_e32 v156, 3, v156
	v_add3_u32 v140, 0, v140, v162
	v_lshl_add_u32 v238, v157, 3, 0
	v_lshl_add_u32 v239, v158, 3, 0
	;; [unrolled: 1-line block ×3, first 2 shown]
	v_add3_u32 v237, 0, v232, v156
	v_lshl_add_u32 v181, v198, 3, 0
	s_delay_alu instid0(VALU_DEP_1)
	v_add_nc_u32_e32 v236, 0x2800, v181
	s_wait_loadcnt_dscnt 0x1303
	v_mul_f64_e32 v[175:176], v[163:164], v[50:51]
	v_mul_f64_e32 v[50:51], v[40:41], v[50:51]
	s_wait_loadcnt 0x12
	v_mul_f64_e32 v[177:178], v[165:166], v[98:99]
	v_mul_f64_e32 v[98:99], v[42:43], v[98:99]
	s_wait_loadcnt_dscnt 0x1102
	v_mul_f64_e32 v[179:180], v[167:168], v[106:107]
	s_wait_loadcnt 0x10
	v_mul_f64_e32 v[214:215], v[169:170], v[90:91]
	v_mul_f64_e32 v[90:91], v[38:39], v[90:91]
	;; [unrolled: 1-line block ×3, first 2 shown]
	s_wait_loadcnt_dscnt 0xf01
	v_mul_f64_e32 v[216:217], v[171:172], v[114:115]
	v_mul_f64_e32 v[218:219], v[32:33], v[114:115]
	ds_load_2addr_b64 v[114:117], v202 offset0:110 offset1:191
	s_wait_loadcnt 0xd
	v_mul_f64_e32 v[220:221], v[173:174], v[124:125]
	v_mul_f64_e32 v[124:125], v[34:35], v[124:125]
	s_wait_dscnt 0x1
	v_mul_f64_e32 v[222:223], v[118:119], v[30:31]
	v_mul_f64_e32 v[30:31], v[24:25], v[30:31]
	v_fma_f64 v[175:176], v[40:41], v[48:49], v[175:176]
	v_fma_f64 v[224:225], v[163:164], v[48:49], -v[50:51]
	ds_load_2addr_b64 v[48:51], v203 offset0:152 offset1:233
	v_fma_f64 v[42:43], v[42:43], v[96:97], v[177:178]
	v_fma_f64 v[226:227], v[165:166], v[96:97], -v[98:99]
	ds_load_2addr_b64 v[96:99], v191 offset0:16 offset1:97
	ds_load_2addr_b64 v[163:166], v207 offset0:58 offset1:139
	s_wait_loadcnt 0xc
	v_mul_f64_e32 v[177:178], v[120:121], v[46:47]
	v_mul_f64_e32 v[46:47], v[26:27], v[46:47]
	v_fma_f64 v[214:215], v[38:39], v[88:89], v[214:215]
	v_fma_f64 v[88:89], v[169:170], v[88:89], -v[90:91]
	s_wait_loadcnt_dscnt 0xa03
	v_mul_f64_e32 v[90:91], v[116:117], v[54:55]
	v_fma_f64 v[179:180], v[36:37], v[104:105], v[179:180]
	v_fma_f64 v[167:168], v[167:168], v[104:105], -v[106:107]
	ds_load_2addr_b64 v[104:107], v210 offset0:50 offset1:131
	ds_load_2addr_b64 v[36:39], v211 offset0:92 offset1:173
	v_mul_f64_e32 v[228:229], v[114:115], v[102:103]
	v_mul_f64_e32 v[102:103], v[20:21], v[102:103]
	;; [unrolled: 1-line block ×3, first 2 shown]
	v_add_nc_u32_e32 v40, 0x1800, v181
	v_add_nc_u32_e32 v41, 0x2000, v181
	s_wait_loadcnt_dscnt 0x904
	v_mul_f64_e32 v[169:170], v[48:49], v[58:59]
	v_mul_f64_e32 v[58:59], v[16:17], v[58:59]
	v_fma_f64 v[32:33], v[32:33], v[112:113], v[216:217]
	v_fma_f64 v[112:113], v[171:172], v[112:113], -v[218:219]
	s_wait_loadcnt 0x8
	v_mul_f64_e32 v[171:172], v[50:51], v[66:67]
	v_fma_f64 v[34:35], v[34:35], v[122:123], v[220:221]
	s_wait_loadcnt_dscnt 0x603
	v_mul_f64_e32 v[216:217], v[96:97], v[70:71]
	v_fma_f64 v[122:123], v[173:174], v[122:123], -v[124:125]
	s_wait_loadcnt_dscnt 0x502
	v_mul_f64_e32 v[124:125], v[163:164], v[74:75]
	v_mul_f64_e32 v[218:219], v[98:99], v[62:63]
	s_wait_loadcnt 0x4
	v_mul_f64_e32 v[173:174], v[165:166], v[78:79]
	s_wait_loadcnt_dscnt 0x301
	v_mul_f64_e32 v[220:221], v[104:105], v[82:83]
	v_fma_f64 v[24:25], v[24:25], v[28:29], v[222:223]
	v_fma_f64 v[28:29], v[118:119], v[28:29], -v[30:31]
	s_wait_loadcnt_dscnt 0x100
	v_mul_f64_e32 v[30:31], v[36:37], v[94:95]
	v_mul_f64_e32 v[230:231], v[106:107], v[86:87]
	s_wait_loadcnt 0x0
	v_mul_f64_e32 v[118:119], v[38:39], v[110:111]
	v_mul_f64_e32 v[66:67], v[18:19], v[66:67]
	;; [unrolled: 1-line block ×5, first 2 shown]
	v_fma_f64 v[26:27], v[26:27], v[44:45], v[177:178]
	v_fma_f64 v[44:45], v[120:121], v[44:45], -v[46:47]
	v_mul_f64_e32 v[46:47], v[12:13], v[70:71]
	v_mul_f64_e32 v[70:71], v[8:9], v[74:75]
	;; [unrolled: 1-line block ×3, first 2 shown]
	v_fma_f64 v[22:23], v[22:23], v[52:53], v[90:91]
	v_mul_f64_e32 v[90:91], v[0:1], v[94:95]
	v_mul_f64_e32 v[94:95], v[2:3], v[110:111]
	v_fma_f64 v[20:21], v[20:21], v[100:101], v[228:229]
	v_fma_f64 v[78:79], v[114:115], v[100:101], -v[102:103]
	v_fma_f64 v[52:53], v[116:117], v[52:53], -v[54:55]
	ds_load_b64 v[100:101], v213
	ds_load_b64 v[102:103], v212
	v_fma_f64 v[16:17], v[16:17], v[56:57], v[169:170]
	v_fma_f64 v[48:49], v[48:49], v[56:57], -v[58:59]
	v_fma_f64 v[18:19], v[18:19], v[64:65], v[171:172]
	v_fma_f64 v[12:13], v[12:13], v[68:69], v[216:217]
	;; [unrolled: 1-line block ×6, first 2 shown]
	ds_load_b64 v[110:111], v196
	ds_load_b64 v[114:115], v197
	;; [unrolled: 1-line block ×4, first 2 shown]
	v_add_f64_e32 v[216:217], v[112:113], v[28:29]
	v_fma_f64 v[0:1], v[0:1], v[92:93], v[30:31]
	v_fma_f64 v[6:7], v[6:7], v[84:85], v[230:231]
	;; [unrolled: 1-line block ×3, first 2 shown]
	v_fma_f64 v[50:51], v[50:51], v[64:65], -v[66:67]
	v_fma_f64 v[54:55], v[98:99], v[60:61], -v[62:63]
	;; [unrolled: 1-line block ×4, first 2 shown]
	v_add_f64_e32 v[64:65], v[175:176], v[179:180]
	v_add_f64_e32 v[66:67], v[42:43], v[214:215]
	;; [unrolled: 1-line block ×3, first 2 shown]
	v_fma_f64 v[46:47], v[96:97], v[68:69], -v[46:47]
	v_fma_f64 v[56:57], v[163:164], v[72:73], -v[70:71]
	v_fma_f64 v[58:59], v[165:166], v[76:77], -v[74:75]
	v_add_f64_e32 v[68:69], v[32:33], v[24:25]
	v_fma_f64 v[36:37], v[36:37], v[92:93], -v[90:91]
	v_fma_f64 v[38:39], v[38:39], v[108:109], -v[94:95]
	v_add_f64_e32 v[70:71], v[34:35], v[26:27]
	v_add_f64_e32 v[72:73], v[154:155], v[175:176]
	;; [unrolled: 1-line block ×9, first 2 shown]
	ds_load_b64 v[30:31], v205
	ds_load_b64 v[118:119], v206
	;; [unrolled: 1-line block ×4, first 2 shown]
	s_wait_dscnt 0x7
	v_add_f64_e32 v[106:107], v[110:111], v[224:225]
	v_add_f64_e32 v[108:109], v[100:101], v[226:227]
	;; [unrolled: 1-line block ×7, first 2 shown]
	v_add_f64_e64 v[94:95], v[224:225], -v[167:168]
	v_add_f64_e32 v[162:163], v[14:15], v[10:11]
	v_add_f64_e64 v[104:105], v[175:176], -v[179:180]
	v_add_f64_e64 v[42:43], v[42:43], -v[214:215]
	;; [unrolled: 1-line block ×3, first 2 shown]
	v_add_f64_e32 v[164:165], v[4:5], v[0:1]
	v_add_f64_e64 v[112:113], v[112:113], -v[28:29]
	v_add_f64_e32 v[169:170], v[6:7], v[2:3]
	v_add_f64_e32 v[230:231], v[52:53], v[50:51]
	s_wait_dscnt 0x6
	v_add_f64_e32 v[222:223], v[114:115], v[122:123]
	v_add_f64_e64 v[122:123], v[122:123], -v[44:45]
	v_add_f64_e64 v[32:33], v[32:33], -v[24:25]
	v_fma_f64 v[64:65], v[64:65], -0.5, v[154:155]
	v_fma_f64 v[66:67], v[66:67], -0.5, v[152:153]
	v_add_f64_e64 v[34:35], v[34:35], -v[26:27]
	s_wait_dscnt 0x5
	v_add_f64_e32 v[224:225], v[120:121], v[78:79]
	v_add_f64_e32 v[232:233], v[46:47], v[56:57]
	;; [unrolled: 1-line block ×3, first 2 shown]
	v_fma_f64 v[68:69], v[68:69], -0.5, v[148:149]
	v_add_f64_e32 v[148:149], v[60:61], v[36:37]
	s_wait_dscnt 0x4
	v_add_f64_e32 v[226:227], v[124:125], v[52:53]
	v_fma_f64 v[70:71], v[70:71], -0.5, v[150:151]
	v_add_f64_e32 v[150:151], v[62:63], v[38:39]
	v_add_f64_e32 v[72:73], v[72:73], v[179:180]
	s_wait_dscnt 0x1
	v_add_f64_e32 v[179:180], v[156:157], v[60:61]
	v_add_f64_e32 v[74:75], v[74:75], v[214:215]
	s_wait_dscnt 0x0
	v_add_f64_e32 v[214:215], v[158:159], v[62:63]
	v_add_f64_e64 v[78:79], v[78:79], -v[48:49]
	v_add_f64_e64 v[52:53], v[52:53], -v[50:51]
	v_add_f64_e32 v[24:25], v[76:77], v[24:25]
	v_add_f64_e32 v[26:27], v[80:81], v[26:27]
	v_fma_f64 v[76:77], v[86:87], -0.5, v[144:145]
	v_add_f64_e32 v[171:172], v[128:129], v[12:13]
	v_fma_f64 v[80:81], v[90:91], -0.5, v[146:147]
	v_add_f64_e64 v[20:21], v[20:21], -v[16:17]
	v_add_f64_e64 v[22:23], v[22:23], -v[18:19]
	v_add_f64_e32 v[234:235], v[30:31], v[46:47]
	v_add_f64_e64 v[46:47], v[46:47], -v[56:57]
	v_add_f64_e32 v[16:17], v[82:83], v[16:17]
	v_add_f64_e32 v[18:19], v[84:85], v[18:19]
	v_fma_f64 v[82:83], v[92:93], -0.5, v[110:111]
	v_fma_f64 v[84:85], v[96:97], -0.5, v[100:101]
	;; [unrolled: 1-line block ×3, first 2 shown]
	v_add_f64_e32 v[173:174], v[130:131], v[14:15]
	v_add_f64_e32 v[152:153], v[118:119], v[54:55]
	v_add_f64_e64 v[54:55], v[54:55], -v[58:59]
	v_fma_f64 v[92:93], v[162:163], -0.5, v[130:131]
	v_add_f64_e32 v[175:176], v[136:137], v[4:5]
	v_add_f64_e64 v[60:61], v[60:61], -v[36:37]
	v_fma_f64 v[96:97], v[164:165], -0.5, v[136:137]
	;; [unrolled: 3-line block ×3, first 2 shown]
	v_add_f64_e64 v[12:13], v[12:13], -v[8:9]
	v_add_f64_e64 v[14:15], v[14:15], -v[10:11]
	;; [unrolled: 1-line block ×4, first 2 shown]
	v_add_f64_e32 v[86:87], v[106:107], v[167:168]
	v_add_f64_e32 v[88:89], v[108:109], v[88:89]
	v_fma_f64 v[102:103], v[216:217], -0.5, v[102:103]
	v_add_f64_e32 v[106:107], v[218:219], v[28:29]
	v_fma_f64 v[28:29], v[220:221], -0.5, v[114:115]
	v_fma_f64 v[108:109], v[228:229], -0.5, v[120:121]
	;; [unrolled: 1-line block ×7, first 2 shown]
	v_add_f64_e32 v[120:121], v[179:180], v[36:37]
	v_fma_f64 v[36:37], v[94:95], s[4:5], v[64:65]
	v_add_f64_e32 v[124:125], v[214:215], v[38:39]
	v_fma_f64 v[38:39], v[94:95], s[10:11], v[64:65]
	v_fma_f64 v[64:65], v[98:99], s[4:5], v[66:67]
	;; [unrolled: 1-line block ×11, first 2 shown]
	v_add_f64_e32 v[8:9], v[171:172], v[8:9]
	v_fma_f64 v[78:79], v[104:105], s[10:11], v[82:83]
	v_fma_f64 v[80:81], v[104:105], s[4:5], v[82:83]
	;; [unrolled: 1-line block ×6, first 2 shown]
	v_add_f64_e32 v[10:11], v[173:174], v[10:11]
	v_fma_f64 v[90:91], v[54:55], s[4:5], v[92:93]
	v_fma_f64 v[54:55], v[54:55], s[10:11], v[92:93]
	v_add_f64_e32 v[0:1], v[175:176], v[0:1]
	v_fma_f64 v[92:93], v[60:61], s[4:5], v[96:97]
	v_fma_f64 v[60:61], v[60:61], s[10:11], v[96:97]
	;; [unrolled: 3-line block ×3, first 2 shown]
	global_wb scope:SCOPE_SE
	s_barrier_signal -1
	s_barrier_wait -1
	global_inv scope:SCOPE_SE
	v_fma_f64 v[100:101], v[32:33], s[10:11], v[102:103]
	v_fma_f64 v[102:103], v[32:33], s[4:5], v[102:103]
	;; [unrolled: 1-line block ×16, first 2 shown]
	ds_store_b64 v196, v[72:73]
	ds_store_b64 v196, v[36:37] offset:2160
	ds_store_b64 v196, v[38:39] offset:4320
	ds_store_b64 v213, v[74:75]
	ds_store_b64 v213, v[64:65] offset:2160
	ds_store_b64 v213, v[66:67] offset:4320
	;; [unrolled: 3-line block ×4, first 2 shown]
	ds_store_2addr_b64 v40, v[16:17], v[18:19] offset0:96 offset1:177
	ds_store_2addr_b64 v41, v[112:113], v[122:123] offset0:110 offset1:191
	;; [unrolled: 1-line block ×3, first 2 shown]
	ds_store_b64 v140, v[8:9]
	ds_store_b64 v140, v[84:85] offset:2160
	ds_store_b64 v140, v[46:47] offset:4320
	ds_store_b64 v238, v[10:11] offset:12960
	ds_store_b64 v238, v[90:91] offset:15120
	ds_store_b64 v238, v[54:55] offset:17280
	ds_store_b64 v239, v[0:1] offset:12960
	ds_store_b64 v239, v[92:93] offset:15120
	ds_store_b64 v239, v[60:61] offset:17280
	ds_store_b64 v240, v[2:3] offset:12960
	ds_store_b64 v240, v[96:97] offset:15120
	ds_store_b64 v240, v[62:63] offset:17280
	global_wb scope:SCOPE_SE
	s_wait_dscnt 0x0
	s_barrier_signal -1
	s_barrier_wait -1
	global_inv scope:SCOPE_SE
	ds_load_b64 v[178:179], v213
	ds_load_b64 v[180:181], v212
	ds_load_b64 v[176:177], v196
	ds_load_b64 v[172:173], v197
	ds_load_b64 v[170:171], v201
	ds_load_b64 v[162:163], v204
	ds_load_b64 v[164:165], v205
	ds_load_b64 v[166:167], v206
	ds_load_b64 v[168:169], v208
	ds_load_b64 v[174:175], v209
	ds_load_2addr_b64 v[36:39], v192 offset0:42 offset1:123
	ds_load_2addr_b64 v[32:35], v193 offset0:84 offset1:165
	;; [unrolled: 1-line block ×10, first 2 shown]
	v_add_f64_e32 v[44:45], v[222:223], v[44:45]
	v_add_f64_e32 v[48:49], v[224:225], v[48:49]
	;; [unrolled: 1-line block ×5, first 2 shown]
	global_wb scope:SCOPE_SE
	s_wait_dscnt 0x0
	s_barrier_signal -1
	s_barrier_wait -1
	global_inv scope:SCOPE_SE
	ds_store_b64 v196, v[86:87]
	ds_store_b64 v196, v[78:79] offset:2160
	ds_store_b64 v196, v[80:81] offset:4320
	ds_store_b64 v213, v[88:89]
	ds_store_b64 v213, v[82:83] offset:2160
	ds_store_b64 v213, v[42:43] offset:4320
	;; [unrolled: 3-line block ×4, first 2 shown]
	ds_store_2addr_b64 v40, v[48:49], v[50:51] offset0:96 offset1:177
	ds_store_2addr_b64 v41, v[130:131], v[136:137] offset0:110 offset1:191
	;; [unrolled: 1-line block ×3, first 2 shown]
	ds_store_b64 v140, v[56:57]
	ds_store_b64 v140, v[138:139] offset:2160
	ds_store_b64 v140, v[144:145] offset:4320
	;; [unrolled: 1-line block ×11, first 2 shown]
	global_wb scope:SCOPE_SE
	s_wait_dscnt 0x0
	s_barrier_signal -1
	s_barrier_wait -1
	global_inv scope:SCOPE_SE
	s_and_saveexec_b32 s0, vcc_lo
	s_cbranch_execz .LBB0_15
; %bb.14:
	s_clause 0x3
	global_load_b128 v[128:131], v[134:135], off offset:12800
	global_load_b128 v[148:151], v[132:133], off offset:12800
	;; [unrolled: 1-line block ×4, first 2 shown]
	v_lshlrev_b32_e32 v140, 1, v184
	v_mul_i32_i24_e32 v214, 0xffffffb8, v185
	v_mul_i32_i24_e32 v215, 0xffffffb8, v188
	v_mul_lo_u32 v216, s3, v126
	v_mul_lo_u32 v217, s2, v127
	v_lshlrev_b64_e32 v[40:41], 4, v[140:141]
	v_lshlrev_b32_e32 v140, 1, v190
	v_mad_co_u64_u32 v[212:213], null, s2, v126, 0
	v_add_nc_u32_e32 v242, v199, v214
	v_add_nc_u32_e32 v240, v200, v215
	s_delay_alu instid0(VALU_DEP_4) | instskip(SKIP_4) | instid1(VALU_DEP_4)
	v_lshlrev_b64_e32 v[42:43], 4, v[140:141]
	v_add_co_u32 v40, vcc_lo, s8, v40
	s_wait_alu 0xfffd
	v_add_co_ci_u32_e32 v41, vcc_lo, s9, v41, vcc_lo
	v_lshlrev_b32_e32 v140, 1, v187
	v_add_co_u32 v42, vcc_lo, s8, v42
	s_wait_alu 0xfffd
	v_add_co_ci_u32_e32 v43, vcc_lo, s9, v43, vcc_lo
	global_load_b128 v[100:103], v[40:41], off offset:12800
	v_lshlrev_b64_e32 v[44:45], 4, v[140:141]
	v_lshlrev_b32_e32 v140, 1, v183
	s_clause 0x4
	global_load_b128 v[96:99], v[42:43], off offset:12800
	global_load_b128 v[92:95], v[142:143], off offset:12800
	;; [unrolled: 1-line block ×5, first 2 shown]
	v_lshlrev_b64_e32 v[40:41], 4, v[140:141]
	v_lshlrev_b32_e32 v140, 1, v189
	v_add_co_u32 v42, vcc_lo, s8, v44
	s_wait_alu 0xfffd
	v_add_co_ci_u32_e32 v43, vcc_lo, s9, v45, vcc_lo
	s_delay_alu instid0(VALU_DEP_3)
	v_lshlrev_b64_e32 v[44:45], 4, v[140:141]
	v_lshlrev_b32_e32 v140, 1, v186
	v_add_co_u32 v40, vcc_lo, s8, v40
	s_wait_alu 0xfffd
	v_add_co_ci_u32_e32 v41, vcc_lo, s9, v41, vcc_lo
	s_clause 0x1
	global_load_b128 v[52:55], v[42:43], off offset:12800
	global_load_b128 v[48:51], v[42:43], off offset:12816
	v_add_co_u32 v42, vcc_lo, s8, v44
	s_wait_alu 0xfffd
	v_add_co_ci_u32_e32 v43, vcc_lo, s9, v45, vcc_lo
	v_lshlrev_b64_e32 v[44:45], 4, v[140:141]
	v_lshlrev_b32_e32 v140, 1, v182
	s_clause 0x2
	global_load_b128 v[64:67], v[40:41], off offset:12800
	global_load_b128 v[60:63], v[40:41], off offset:12816
	;; [unrolled: 1-line block ×3, first 2 shown]
	v_add3_u32 v213, v213, v217, v216
	v_lshlrev_b64_e32 v[160:161], 4, v[160:161]
	v_add_nc_u32_e32 v246, 0x1e6, v198
	v_lshlrev_b64_e32 v[46:47], 4, v[140:141]
	v_add_co_u32 v44, vcc_lo, s8, v44
	s_wait_alu 0xfffd
	v_add_co_ci_u32_e32 v45, vcc_lo, s9, v45, vcc_lo
	s_clause 0x1
	global_load_b128 v[76:79], v[42:43], off offset:12816
	global_load_b128 v[40:43], v[44:45], off offset:12800
	v_add_co_u32 v68, vcc_lo, s8, v46
	s_wait_alu 0xfffd
	v_add_co_ci_u32_e32 v69, vcc_lo, s9, v47, vcc_lo
	s_clause 0x2
	global_load_b128 v[44:47], v[44:45], off offset:12816
	global_load_b128 v[72:75], v[68:69], off offset:12800
	;; [unrolled: 1-line block ×3, first 2 shown]
	ds_load_2addr_b64 v[144:147], v210 offset0:50 offset1:131
	ds_load_2addr_b64 v[140:143], v211 offset0:92 offset1:173
	;; [unrolled: 1-line block ×4, first 2 shown]
	ds_load_b64 v[190:191], v209
	ds_load_b64 v[188:189], v208
	;; [unrolled: 1-line block ×4, first 2 shown]
	ds_load_2addr_b64 v[108:111], v202 offset0:110 offset1:191
	ds_load_2addr_b64 v[104:107], v203 offset0:152 offset1:233
	;; [unrolled: 1-line block ×6, first 2 shown]
	ds_load_b64 v[186:187], v204
	ds_load_b64 v[192:193], v201
	;; [unrolled: 1-line block ×4, first 2 shown]
	v_mul_hi_u32 v201, 0x50e89cc3, v198
	v_add_nc_u32_e32 v202, 0x51, v198
	v_add_nc_u32_e32 v205, 0x144, v198
	;; [unrolled: 1-line block ×4, first 2 shown]
	v_mul_hi_u32 v244, 0x50e89cc3, v246
	v_mul_hi_u32 v207, 0x50e89cc3, v202
	ds_load_b64 v[240:241], v240
	ds_load_b64 v[242:243], v242
	v_lshrrev_b32_e32 v199, 8, v201
	v_mul_hi_u32 v201, 0x50e89cc3, v205
	v_mul_hi_u32 v210, 0x50e89cc3, v206
	;; [unrolled: 1-line block ×3, first 2 shown]
	s_delay_alu instid0(VALU_DEP_4)
	v_mul_u32_u24_e32 v211, 0x32a, v199
	v_lshrrev_b32_e32 v207, 8, v207
	v_lshlrev_b64_e32 v[199:200], 4, v[212:213]
	v_lshrrev_b32_e32 v248, 8, v244
	v_lshrrev_b32_e32 v212, 8, v201
	v_sub_nc_u32_e32 v215, v198, v211
	v_mul_u32_u24_e32 v201, 0x32a, v207
	v_lshrrev_b32_e32 v210, 8, v210
	v_add_co_u32 v217, vcc_lo, s6, v199
	s_delay_alu instid0(VALU_DEP_4)
	v_add_nc_u32_e32 v226, 0x32a, v215
	s_wait_alu 0xfffd
	v_add_co_ci_u32_e32 v218, vcc_lo, s7, v200, vcc_lo
	v_mad_co_u64_u32 v[199:200], null, s16, v215, 0
	v_sub_nc_u32_e32 v219, v202, v201
	v_mad_co_u64_u32 v[201:202], null, s16, v226, 0
	v_add_nc_u32_e32 v203, 0xa2, v198
	v_mul_u32_u24_e32 v216, 0x32a, v210
	v_add_nc_u32_e32 v228, 0x654, v215
	v_lshrrev_b32_e32 v209, 8, v209
	v_mul_u32_u24_e32 v214, 0x32a, v212
	v_mad_u32_u24 v229, 0x97e, v207, v219
	v_sub_nc_u32_e32 v206, v206, v216
	v_mad_co_u64_u32 v[215:216], null, s17, v215, v[200:201]
	v_mov_b32_e32 v200, v202
	v_mul_hi_u32 v208, 0x50e89cc3, v203
	v_mul_u32_u24_e32 v213, 0x32a, v209
	v_mad_u32_u24 v245, 0x97e, v210, v206
	v_add_nc_u32_e32 v232, 0x32a, v229
	v_add_co_u32 v160, vcc_lo, v217, v160
	v_mad_co_u64_u32 v[226:227], null, s17, v226, v[200:201]
	v_lshrrev_b32_e32 v208, 8, v208
	s_delay_alu instid0(VALU_DEP_4) | instskip(SKIP_2) | instid1(VALU_DEP_3)
	v_mad_co_u64_u32 v[216:217], null, s16, v232, 0
	s_wait_alu 0xfffd
	v_add_co_ci_u32_e32 v161, vcc_lo, v218, v161, vcc_lo
	v_mul_u32_u24_e32 v211, 0x32a, v208
	v_add_nc_u32_e32 v250, 0x654, v245
	v_mul_u32_u24_e32 v249, 0x32a, v248
	s_delay_alu instid0(VALU_DEP_3) | instskip(SKIP_1) | instid1(VALU_DEP_2)
	v_sub_nc_u32_e32 v203, v203, v211
	v_sub_nc_u32_e32 v211, v204, v213
	v_mad_u32_u24 v230, 0x97e, v208, v203
	v_mad_co_u64_u32 v[203:204], null, s16, v228, 0
	s_delay_alu instid0(VALU_DEP_3) | instskip(NEXT) | instid1(VALU_DEP_3)
	v_mad_u32_u24 v231, 0x97e, v209, v211
	v_mad_co_u64_u32 v[207:208], null, s16, v230, 0
	v_add_nc_u32_e32 v235, 0x654, v230
	s_delay_alu instid0(VALU_DEP_3) | instskip(SKIP_4) | instid1(VALU_DEP_3)
	v_mad_co_u64_u32 v[209:210], null, s16, v231, 0
	v_mov_b32_e32 v202, v204
	v_sub_nc_u32_e32 v205, v205, v214
	v_dual_mov_b32 v204, v208 :: v_dual_add_nc_u32 v237, 0x32a, v231
	v_mad_co_u64_u32 v[222:223], null, s16, v235, 0
	v_mad_u32_u24 v239, 0x97e, v212, v205
	v_mad_co_u64_u32 v[205:206], null, s16, v229, 0
	v_add_nc_u32_e32 v233, 0x654, v229
	v_mad_co_u64_u32 v[227:228], null, s17, v228, v[202:203]
	s_delay_alu instid0(VALU_DEP_4)
	v_mad_co_u64_u32 v[211:212], null, s16, v239, 0
	v_mov_b32_e32 v208, v217
	v_mov_b32_e32 v202, v206
	v_mad_co_u64_u32 v[218:219], null, s16, v233, 0
	v_mov_b32_e32 v206, v210
	v_mad_co_u64_u32 v[224:225], null, s16, v237, 0
	s_delay_alu instid0(VALU_DEP_4)
	v_mad_co_u64_u32 v[228:229], null, s17, v229, v[202:203]
	v_add_nc_u32_e32 v234, 0x32a, v230
	v_mov_b32_e32 v210, v219
	v_mad_co_u64_u32 v[229:230], null, s17, v230, v[204:205]
	v_add_nc_u32_e32 v238, 0x654, v231
	v_mov_b32_e32 v202, v226
	v_dual_mov_b32 v204, v227 :: v_dual_mov_b32 v217, v223
	v_mad_co_u64_u32 v[226:227], null, s17, v231, v[206:207]
	v_mad_co_u64_u32 v[230:231], null, s17, v232, v[208:209]
	;; [unrolled: 1-line block ×3, first 2 shown]
	v_mov_b32_e32 v206, v225
	v_mad_co_u64_u32 v[231:232], null, s17, v233, v[210:211]
	v_mov_b32_e32 v210, v212
	v_mad_co_u64_u32 v[235:236], null, s17, v235, v[217:218]
	s_delay_alu instid0(VALU_DEP_4) | instskip(SKIP_1) | instid1(VALU_DEP_4)
	v_mad_co_u64_u32 v[236:237], null, s17, v237, v[206:207]
	v_mov_b32_e32 v206, v228
	v_mad_co_u64_u32 v[227:228], null, s17, v239, v[210:211]
	v_mov_b32_e32 v212, v214
	;; [unrolled: 2-line block ×3, first 2 shown]
	v_mov_b32_e32 v210, v226
	s_delay_alu instid0(VALU_DEP_4)
	v_mad_co_u64_u32 v[228:229], null, s17, v245, v[212:213]
	v_mov_b32_e32 v212, v227
	v_dual_mov_b32 v200, v215 :: v_dual_add_nc_u32 v247, 0x654, v239
	v_mov_b32_e32 v215, v221
	v_mov_b32_e32 v217, v230
	;; [unrolled: 1-line block ×3, first 2 shown]
	s_delay_alu instid0(VALU_DEP_4)
	v_lshlrev_b64_e32 v[199:200], 4, v[199:200]
	v_mad_co_u64_u32 v[230:231], null, s16, v247, 0
	v_mad_co_u64_u32 v[232:233], null, s17, v234, v[215:216]
	v_mad_co_u64_u32 v[233:234], null, s16, v238, 0
	v_lshlrev_b64_e32 v[201:202], 4, v[201:202]
	v_add_co_u32 v199, vcc_lo, v160, v199
	v_lshlrev_b64_e32 v[203:204], 4, v[203:204]
	v_mov_b32_e32 v221, v232
	v_mad_co_u64_u32 v[231:232], null, s17, v247, v[231:232]
	v_dual_mov_b32 v214, v234 :: v_dual_add_nc_u32 v247, 0x32a, v245
	s_wait_alu 0xfffd
	v_add_co_ci_u32_e32 v200, vcc_lo, v161, v200, vcc_lo
	v_lshlrev_b64_e32 v[205:206], 4, v[205:206]
	s_delay_alu instid0(VALU_DEP_3)
	v_mad_co_u64_u32 v[237:238], null, s17, v238, v[214:215]
	v_mov_b32_e32 v214, v228
	v_lshlrev_b64_e32 v[207:208], 4, v[207:208]
	v_lshlrev_b64_e32 v[209:210], 4, v[209:210]
	v_add_nc_u32_e32 v234, 0x32a, v239
	v_lshlrev_b64_e32 v[211:212], 4, v[211:212]
	v_mov_b32_e32 v223, v235
	v_mov_b32_e32 v225, v236
	s_delay_alu instid0(VALU_DEP_4) | instskip(NEXT) | instid1(VALU_DEP_1)
	v_mad_co_u64_u32 v[238:239], null, s16, v234, 0
	v_mov_b32_e32 v215, v239
	s_delay_alu instid0(VALU_DEP_1) | instskip(NEXT) | instid1(VALU_DEP_1)
	v_mad_co_u64_u32 v[235:236], null, s17, v234, v[215:216]
	v_dual_mov_b32 v234, v237 :: v_dual_mov_b32 v239, v235
	v_mad_co_u64_u32 v[235:236], null, s16, v247, 0
	s_wait_loadcnt 0x13
	v_mul_f64_e32 v[226:227], v[38:39], v[130:131]
	s_wait_dscnt 0x7
	v_mul_f64_e32 v[130:131], v[158:159], v[130:131]
	s_wait_loadcnt 0x12
	v_mul_f64_e32 v[228:229], v[36:37], v[150:151]
	v_mul_f64_e32 v[150:151], v[156:157], v[150:151]
	s_wait_loadcnt 0x11
	v_mul_f64_e32 v[244:245], v[34:35], v[138:139]
	v_fma_f64 v[158:159], v[128:129], v[158:159], -v[226:227]
	v_fma_f64 v[38:39], v[38:39], v[128:129], v[130:131]
	s_wait_dscnt 0x6
	v_mul_f64_e32 v[128:129], v[154:155], v[138:139]
	s_wait_loadcnt 0x10
	v_mul_f64_e32 v[130:131], v[32:33], v[134:135]
	v_mul_f64_e32 v[134:135], v[152:153], v[134:135]
	v_fma_f64 v[138:139], v[148:149], v[156:157], -v[228:229]
	v_add_co_u32 v156, vcc_lo, v160, v201
	s_wait_alu 0xfffd
	v_add_co_ci_u32_e32 v157, vcc_lo, v161, v202, vcc_lo
	v_add_co_u32 v201, vcc_lo, v160, v203
	s_wait_alu 0xfffd
	v_add_co_ci_u32_e32 v202, vcc_lo, v161, v204, vcc_lo
	;; [unrolled: 3-line block ×3, first 2 shown]
	v_fma_f64 v[36:37], v[36:37], v[148:149], v[150:151]
	v_add_co_u32 v148, vcc_lo, v160, v207
	s_wait_alu 0xfffd
	v_add_co_ci_u32_e32 v149, vcc_lo, v161, v208, vcc_lo
	v_add_co_u32 v207, vcc_lo, v160, v209
	s_wait_loadcnt 0xf
	v_mul_f64_e32 v[227:228], v[30:31], v[102:103]
	v_mul_f64_e32 v[102:103], v[146:147], v[102:103]
	s_wait_loadcnt 0xe
	v_mul_f64_e32 v[150:151], v[28:29], v[98:99]
	v_mul_f64_e32 v[98:99], v[144:145], v[98:99]
	s_wait_alu 0xfffd
	v_add_co_ci_u32_e32 v208, vcc_lo, v161, v210, vcc_lo
	s_wait_loadcnt 0xd
	v_mul_f64_e32 v[209:210], v[8:9], v[94:95]
	v_fma_f64 v[154:155], v[136:137], v[154:155], -v[244:245]
	v_mul_f64_e32 v[94:95], v[112:113], v[94:95]
	v_lshlrev_b64_e32 v[203:204], 4, v[216:217]
	v_lshlrev_b64_e32 v[215:216], 4, v[218:219]
	;; [unrolled: 1-line block ×6, first 2 shown]
	v_fma_f64 v[34:35], v[34:35], v[136:137], v[128:129]
	s_wait_loadcnt 0xc
	v_mul_f64_e32 v[128:129], v[12:13], v[90:91]
	v_mul_f64_e32 v[90:91], v[116:117], v[90:91]
	s_wait_loadcnt 0xb
	v_mul_f64_e32 v[136:137], v[26:27], v[82:83]
	v_fma_f64 v[32:33], v[32:33], v[132:133], v[134:135]
	v_mul_f64_e32 v[82:83], v[142:143], v[82:83]
	s_wait_loadcnt 0xa
	v_mul_f64_e32 v[134:135], v[24:25], v[86:87]
	v_mul_f64_e32 v[86:87], v[140:141], v[86:87]
	v_fma_f64 v[130:131], v[132:133], v[152:153], -v[130:131]
	v_add_co_u32 v132, vcc_lo, v160, v211
	s_wait_alu 0xfffd
	v_add_co_ci_u32_e32 v133, vcc_lo, v161, v212, vcc_lo
	v_add_co_u32 v152, vcc_lo, v160, v203
	s_wait_alu 0xfffd
	v_add_co_ci_u32_e32 v153, vcc_lo, v161, v204, vcc_lo
	;; [unrolled: 3-line block ×3, first 2 shown]
	s_wait_loadcnt 0x9
	v_mul_f64_e32 v[215:216], v[18:19], v[54:55]
	v_mul_f64_e32 v[54:55], v[122:123], v[54:55]
	v_fma_f64 v[146:147], v[100:101], v[146:147], -v[227:228]
	v_fma_f64 v[30:31], v[30:31], v[100:101], v[102:103]
	s_wait_loadcnt 0x8
	v_mul_f64_e32 v[100:101], v[22:23], v[50:51]
	v_fma_f64 v[102:103], v[96:97], v[144:145], -v[150:151]
	v_mul_f64_e32 v[50:51], v[126:127], v[50:51]
	s_wait_loadcnt 0x7
	v_mul_f64_e32 v[144:145], v[16:17], v[66:67]
	v_fma_f64 v[28:29], v[28:29], v[96:97], v[98:99]
	s_wait_loadcnt 0x6
	v_mul_f64_e32 v[96:97], v[20:21], v[62:63]
	v_mul_f64_e32 v[66:67], v[120:121], v[66:67]
	;; [unrolled: 1-line block ×3, first 2 shown]
	s_wait_loadcnt 0x5
	v_mul_f64_e32 v[98:99], v[2:3], v[58:59]
	v_fma_f64 v[112:113], v[92:93], v[112:113], -v[209:210]
	v_fma_f64 v[8:9], v[8:9], v[92:93], v[94:95]
	s_wait_loadcnt 0x4
	v_mul_f64_e32 v[92:93], v[6:7], v[78:79]
	v_mul_f64_e32 v[58:59], v[110:111], v[58:59]
	;; [unrolled: 1-line block ×3, first 2 shown]
	v_fma_f64 v[94:95], v[88:89], v[116:117], -v[128:129]
	v_fma_f64 v[12:13], v[12:13], v[88:89], v[90:91]
	s_wait_loadcnt 0x3
	v_mul_f64_e32 v[88:89], v[0:1], v[42:43]
	v_fma_f64 v[90:91], v[80:81], v[142:143], -v[136:137]
	v_fma_f64 v[26:27], v[26:27], v[80:81], v[82:83]
	s_wait_loadcnt 0x2
	v_mul_f64_e32 v[80:81], v[4:5], v[46:47]
	v_mul_f64_e32 v[42:43], v[108:109], v[42:43]
	v_fma_f64 v[82:83], v[84:85], v[140:141], -v[134:135]
	v_mul_f64_e32 v[46:47], v[104:105], v[46:47]
	s_wait_loadcnt 0x1
	v_mul_f64_e32 v[116:117], v[10:11], v[74:75]
	v_fma_f64 v[24:25], v[24:25], v[84:85], v[86:87]
	s_wait_loadcnt 0x0
	v_mul_f64_e32 v[84:85], v[14:15], v[70:71]
	v_mul_f64_e32 v[74:75], v[114:115], v[74:75]
	;; [unrolled: 1-line block ×3, first 2 shown]
	v_add_co_u32 v211, vcc_lo, v160, v217
	s_wait_alu 0xfffd
	v_add_co_ci_u32_e32 v212, vcc_lo, v161, v218, vcc_lo
	v_add_co_u32 v128, vcc_lo, v160, v219
	v_fma_f64 v[86:87], v[52:53], v[122:123], -v[215:216]
	v_fma_f64 v[18:19], v[18:19], v[52:53], v[54:55]
	s_wait_alu 0xfffd
	v_add_co_ci_u32_e32 v129, vcc_lo, v161, v220, vcc_lo
	v_fma_f64 v[52:53], v[48:49], v[126:127], -v[100:101]
	v_add_co_u32 v134, vcc_lo, v160, v221
	v_fma_f64 v[48:49], v[22:23], v[48:49], v[50:51]
	v_fma_f64 v[22:23], v[64:65], v[120:121], -v[144:145]
	v_fma_f64 v[50:51], v[60:61], v[124:125], -v[96:97]
	v_fma_f64 v[16:17], v[16:17], v[64:65], v[66:67]
	v_fma_f64 v[54:55], v[20:21], v[60:61], v[62:63]
	v_fma_f64 v[20:21], v[56:57], v[110:111], -v[98:99]
	s_wait_alu 0xfffd
	v_add_co_ci_u32_e32 v135, vcc_lo, v161, v222, vcc_lo
	v_fma_f64 v[92:93], v[76:77], v[106:107], -v[92:93]
	v_fma_f64 v[2:3], v[2:3], v[56:57], v[58:59]
	v_fma_f64 v[76:77], v[6:7], v[76:77], v[78:79]
	v_add_f64_e32 v[6:7], v[112:113], v[94:95]
	v_add_co_u32 v136, vcc_lo, v160, v223
	v_fma_f64 v[58:59], v[40:41], v[108:109], -v[88:89]
	s_wait_alu 0xfffd
	v_add_co_ci_u32_e32 v137, vcc_lo, v161, v224, vcc_lo
	v_lshlrev_b64_e32 v[209:210], 4, v[230:231]
	v_add_f64_e64 v[56:57], v[8:9], -v[12:13]
	v_add_f64_e64 v[78:79], v[36:37], -v[32:33]
	v_fma_f64 v[60:61], v[72:73], v[114:115], -v[116:117]
	v_add_f64_e64 v[88:89], v[138:139], -v[130:131]
	v_fma_f64 v[62:63], v[68:69], v[118:119], -v[84:85]
	v_fma_f64 v[64:65], v[10:11], v[72:73], v[74:75]
	v_fma_f64 v[66:67], v[14:15], v[68:69], v[70:71]
	v_fma_f64 v[68:69], v[44:45], v[104:105], -v[80:81]
	v_fma_f64 v[14:15], v[0:1], v[40:41], v[42:43]
	v_fma_f64 v[70:71], v[4:5], v[44:45], v[46:47]
	s_wait_dscnt 0x1
	v_add_f64_e32 v[0:1], v[240:241], v[112:113]
	v_add_f64_e32 v[4:5], v[8:9], v[12:13]
	;; [unrolled: 1-line block ×3, first 2 shown]
	s_wait_dscnt 0x0
	v_add_f64_e32 v[42:43], v[242:243], v[158:159]
	v_add_f64_e32 v[44:45], v[38:39], v[34:35]
	;; [unrolled: 1-line block ×5, first 2 shown]
	v_add_f64_e64 v[40:41], v[112:113], -v[94:95]
	v_add_f64_e32 v[8:9], v[180:181], v[8:9]
	v_add_f64_e64 v[74:75], v[158:159], -v[154:155]
	v_add_f64_e32 v[36:37], v[176:177], v[36:37]
	v_add_f64_e32 v[116:117], v[86:87], v[52:53]
	v_add_f64_e64 v[118:119], v[18:19], -v[48:49]
	v_add_f64_e32 v[120:121], v[184:185], v[86:87]
	;; [unrolled: 3-line block ×3, first 2 shown]
	v_add_f64_e64 v[110:111], v[28:29], -v[24:25]
	v_add_f64_e32 v[231:232], v[162:163], v[2:3]
	v_add_f64_e64 v[223:224], v[2:3], -v[76:77]
	v_add_f64_e32 v[227:228], v[2:3], v[76:77]
	v_fma_f64 v[233:234], v[6:7], -0.5, v[240:241]
	v_add_f64_e32 v[114:115], v[28:29], v[24:25]
	v_add_f64_e32 v[28:29], v[168:169], v[28:29]
	v_add_f64_e64 v[72:73], v[38:39], -v[34:35]
	v_add_f64_e32 v[38:39], v[178:179], v[38:39]
	v_add_f64_e32 v[100:101], v[190:191], v[146:147]
	;; [unrolled: 1-line block ×7, first 2 shown]
	v_lshlrev_b64_e32 v[150:151], 4, v[213:214]
	v_add_f64_e32 v[86:87], v[64:65], v[66:67]
	v_add_f64_e32 v[18:19], v[58:59], v[68:69]
	v_add_f64_e64 v[98:99], v[30:31], -v[26:27]
	v_add_f64_e32 v[143:144], v[14:15], v[70:71]
	v_add_f64_e32 v[2:3], v[0:1], v[94:95]
	v_fma_f64 v[94:95], v[4:5], -0.5, v[180:181]
	v_fma_f64 v[180:181], v[10:11], -0.5, v[242:243]
	v_add_f64_e32 v[6:7], v[42:43], v[154:155]
	v_fma_f64 v[154:155], v[44:45], -0.5, v[178:179]
	v_fma_f64 v[44:45], v[46:47], -0.5, v[196:197]
	v_add_f64_e32 v[10:11], v[80:81], v[130:131]
	v_fma_f64 v[80:81], v[84:85], -0.5, v[176:177]
	v_add_f64_e32 v[30:31], v[174:175], v[30:31]
	v_add_f64_e32 v[213:214], v[182:183], v[22:23]
	v_lshlrev_b64_e32 v[225:226], 4, v[238:239]
	v_add_f64_e32 v[96:97], v[146:147], v[90:91]
	v_add_f64_e64 v[106:107], v[146:147], -v[90:91]
	v_add_f64_e32 v[145:146], v[22:23], v[50:51]
	v_add_f64_e32 v[215:216], v[16:17], v[54:55]
	;; [unrolled: 1-line block ×3, first 2 shown]
	v_add_co_u32 v140, vcc_lo, v160, v225
	v_add_f64_e32 v[8:9], v[36:37], v[32:33]
	v_add_f64_e64 v[130:131], v[14:15], -v[70:71]
	v_add_f64_e32 v[84:85], v[192:193], v[58:59]
	v_add_f64_e64 v[176:177], v[58:59], -v[68:69]
	;; [unrolled: 2-line block ×3, first 2 shown]
	v_add_f64_e32 v[196:197], v[194:195], v[60:61]
	v_add_f64_e32 v[64:65], v[172:173], v[64:65]
	s_wait_alu 0xfffd
	v_add_co_ci_u32_e32 v141, vcc_lo, v161, v226, vcc_lo
	v_add_f64_e64 v[158:159], v[16:17], -v[54:55]
	v_add_f64_e32 v[219:220], v[164:165], v[16:17]
	v_add_f64_e32 v[225:226], v[186:187], v[20:21]
	v_add_f64_e64 v[60:61], v[60:61], -v[62:63]
	v_fma_f64 v[124:125], v[124:125], -0.5, v[194:195]
	v_add_f64_e32 v[16:17], v[28:29], v[24:25]
	v_fma_f64 v[86:87], v[86:87], -0.5, v[172:173]
	v_fma_f64 v[172:173], v[18:19], -0.5, v[192:193]
	v_add_f64_e64 v[217:218], v[22:23], -v[50:51]
	v_fma_f64 v[143:144], v[143:144], -0.5, v[170:171]
	v_add_f64_e64 v[229:230], v[20:21], -v[92:93]
	v_fma_f64 v[28:29], v[40:41], s[10:11], v[94:95]
	v_fma_f64 v[32:33], v[40:41], s[4:5], v[94:95]
	v_add_f64_e32 v[4:5], v[38:39], v[34:35]
	v_add_f64_e32 v[14:15], v[100:101], v[90:91]
	v_fma_f64 v[42:43], v[78:79], s[4:5], v[44:45]
	v_fma_f64 v[46:47], v[78:79], s[10:11], v[44:45]
	v_fma_f64 v[44:45], v[88:89], s[4:5], v[80:81]
	v_fma_f64 v[40:41], v[88:89], s[10:11], v[80:81]
	v_fma_f64 v[90:91], v[104:105], -0.5, v[174:175]
	v_fma_f64 v[100:101], v[108:109], -0.5, v[188:189]
	v_add_f64_e32 v[18:19], v[112:113], v[82:83]
	v_fma_f64 v[108:109], v[116:117], -0.5, v[184:185]
	v_add_f64_e32 v[22:23], v[120:121], v[52:53]
	v_fma_f64 v[112:113], v[122:123], -0.5, v[166:167]
	v_fma_f64 v[120:121], v[221:222], -0.5, v[186:187]
	;; [unrolled: 1-line block ×3, first 2 shown]
	v_add_f64_e32 v[12:13], v[30:31], v[26:27]
	v_add_f64_e32 v[20:21], v[138:139], v[48:49]
	;; [unrolled: 1-line block ×3, first 2 shown]
	v_fma_f64 v[50:51], v[72:73], s[10:11], v[180:181]
	v_fma_f64 v[48:49], v[74:75], s[4:5], v[154:155]
	v_fma_f64 v[38:39], v[72:73], s[4:5], v[180:181]
	v_fma_f64 v[36:37], v[74:75], s[10:11], v[154:155]
	v_fma_f64 v[34:35], v[56:57], s[10:11], v[233:234]
	v_fma_f64 v[30:31], v[56:57], s[4:5], v[233:234]
	v_add_f64_e64 v[102:103], v[102:103], -v[82:83]
	v_fma_f64 v[104:105], v[114:115], -0.5, v[168:169]
	v_fma_f64 v[114:115], v[145:146], -0.5, v[182:183]
	;; [unrolled: 1-line block ×3, first 2 shown]
	v_mov_b32_e32 v142, v236
	v_add_f64_e32 v[52:53], v[58:59], v[70:71]
	v_add_f64_e32 v[58:59], v[196:197], v[62:63]
	;; [unrolled: 1-line block ×3, first 2 shown]
	s_clause 0x8
	global_store_b128 v[199:200], v[8:11], off
	global_store_b128 v[156:157], v[44:47], off
	;; [unrolled: 1-line block ×9, first 2 shown]
	v_fma_f64 v[2:3], v[130:131], s[4:5], v[172:173]
	v_fma_f64 v[0:1], v[176:177], s[10:11], v[143:144]
	;; [unrolled: 1-line block ×4, first 2 shown]
	v_add_f64_e32 v[74:75], v[225:226], v[92:93]
	v_add_f64_e32 v[72:73], v[231:232], v[76:77]
	v_fma_f64 v[62:63], v[178:179], s[4:5], v[124:125]
	v_fma_f64 v[60:61], v[60:61], s[10:11], v[86:87]
	;; [unrolled: 1-line block ×10, first 2 shown]
	v_add_f64_e32 v[24:25], v[219:220], v[54:55]
	v_add_f64_e32 v[54:55], v[84:85], v[68:69]
	v_fma_f64 v[70:71], v[130:131], s[10:11], v[172:173]
	v_fma_f64 v[68:69], v[176:177], s[4:5], v[143:144]
	v_mad_co_u64_u32 v[4:5], null, s17, v247, v[142:143]
	v_mad_co_u64_u32 v[5:6], null, s16, v250, 0
	v_sub_nc_u32_e32 v7, v246, v249
	v_add_co_u32 v28, vcc_lo, v160, v209
	v_fma_f64 v[96:97], v[96:97], -0.5, v[190:191]
	v_mov_b32_e32 v236, v4
	s_delay_alu instid0(VALU_DEP_4)
	v_mad_u32_u24 v41, 0x97e, v248, v7
	v_mov_b32_e32 v4, v6
	s_wait_alu 0xfffd
	v_add_co_ci_u32_e32 v29, vcc_lo, v161, v210, vcc_lo
	v_lshlrev_b64_e32 v[6:7], 4, v[235:236]
	v_add_co_u32 v30, vcc_lo, v160, v150
	v_add_nc_u32_e32 v43, 0x237, v198
	s_wait_alu 0xfffd
	v_add_co_ci_u32_e32 v31, vcc_lo, v161, v151, vcc_lo
	v_mad_co_u64_u32 v[34:35], null, s17, v250, v[4:5]
	v_add_co_u32 v35, vcc_lo, v160, v6
	v_add_nc_u32_e32 v42, 0x32a, v41
	v_mad_co_u64_u32 v[32:33], null, s16, v41, 0
	s_wait_alu 0xfffd
	v_add_co_ci_u32_e32 v36, vcc_lo, v161, v7, vcc_lo
	v_mul_hi_u32 v7, 0x50e89cc3, v43
	v_fma_f64 v[80:81], v[102:103], s[10:11], v[104:105]
	v_fma_f64 v[84:85], v[102:103], s[4:5], v[104:105]
	;; [unrolled: 1-line block ×4, first 2 shown]
	v_mad_co_u64_u32 v[37:38], null, s16, v42, 0
	v_fma_f64 v[102:103], v[158:159], s[10:11], v[114:115]
	v_fma_f64 v[100:101], v[217:218], s[4:5], v[116:117]
	v_mov_b32_e32 v4, v33
	v_mov_b32_e32 v6, v34
	v_lshrrev_b32_e32 v7, 8, v7
	s_clause 0x7
	global_store_b128 v[207:208], v[56:59], off
	global_store_b128 v[134:135], v[64:67], off
	global_store_b128 v[136:137], v[60:63], off
	global_store_b128 v[132:133], v[52:55], off
	global_store_b128 v[140:141], v[68:71], off
	global_store_b128 v[28:29], v[0:3], off
	global_store_b128 v[30:31], v[72:75], off
	global_store_b128 v[35:36], v[108:111], off
	v_mov_b32_e32 v2, v38
	v_mad_co_u64_u32 v[39:40], null, s17, v41, v[4:5]
	v_lshlrev_b64_e32 v[0:1], 4, v[5:6]
	v_mul_u32_u24_e32 v5, 0x32a, v7
	v_add_nc_u32_e32 v34, 0x654, v41
	v_mad_co_u64_u32 v[2:3], null, s17, v42, v[2:3]
	v_add_nc_u32_e32 v35, 0x288, v198
	s_delay_alu instid0(VALU_DEP_4) | instskip(SKIP_3) | instid1(VALU_DEP_4)
	v_sub_nc_u32_e32 v5, v43, v5
	v_mov_b32_e32 v33, v39
	v_mad_co_u64_u32 v[3:4], null, s16, v34, 0
	v_add_co_u32 v0, vcc_lo, v160, v0
	v_mad_u32_u24 v7, 0x97e, v7, v5
	v_mov_b32_e32 v38, v2
	v_lshlrev_b64_e32 v[5:6], 4, v[32:33]
	v_fma_f64 v[10:11], v[98:99], s[4:5], v[96:97]
	v_mov_b32_e32 v2, v4
	v_mad_co_u64_u32 v[28:29], null, s16, v7, 0
	v_lshlrev_b64_e32 v[30:31], 4, v[37:38]
	v_fma_f64 v[78:79], v[98:99], s[10:11], v[96:97]
	v_fma_f64 v[98:99], v[158:159], s[4:5], v[114:115]
	;; [unrolled: 1-line block ×3, first 2 shown]
	s_wait_alu 0xfffd
	v_add_co_ci_u32_e32 v1, vcc_lo, v161, v1, vcc_lo
	v_add_co_u32 v5, vcc_lo, v160, v5
	v_mul_hi_u32 v36, 0x50e89cc3, v35
	s_wait_alu 0xfffd
	v_add_co_ci_u32_e32 v6, vcc_lo, v161, v6, vcc_lo
	v_mad_co_u64_u32 v[32:33], null, s17, v34, v[2:3]
	v_mov_b32_e32 v2, v29
	v_add_co_u32 v29, vcc_lo, v160, v30
	s_wait_alu 0xfffd
	v_add_co_ci_u32_e32 v30, vcc_lo, v161, v31, vcc_lo
	s_clause 0x2
	global_store_b128 v[0:1], v[104:107], off
	global_store_b128 v[5:6], v[24:27], off
	;; [unrolled: 1-line block ×3, first 2 shown]
	v_lshrrev_b32_e32 v24, 8, v36
	v_mad_co_u64_u32 v[33:34], null, s17, v7, v[2:3]
	v_dual_mov_b32 v4, v32 :: v_dual_add_nc_u32 v25, 0x32a, v7
	v_add_nc_u32_e32 v26, 0x654, v7
	s_delay_alu instid0(VALU_DEP_4) | instskip(SKIP_1) | instid1(VALU_DEP_4)
	v_mul_u32_u24_e32 v6, 0x32a, v24
	v_fma_f64 v[88:89], v[126:127], s[10:11], v[112:113]
	v_lshlrev_b64_e32 v[0:1], 4, v[3:4]
	v_mad_co_u64_u32 v[2:3], null, s16, v25, 0
	v_mad_co_u64_u32 v[4:5], null, s16, v26, 0
	v_mov_b32_e32 v29, v33
	v_sub_nc_u32_e32 v27, v35, v6
	v_fma_f64 v[92:93], v[126:127], s[4:5], v[112:113]
	v_add_co_u32 v0, vcc_lo, v160, v0
	s_delay_alu instid0(VALU_DEP_4) | instskip(NEXT) | instid1(VALU_DEP_4)
	v_lshlrev_b64_e32 v[6:7], 4, v[28:29]
	v_mad_u32_u24 v28, 0x97e, v24, v27
	v_mad_co_u64_u32 v[24:25], null, s17, v25, v[3:4]
	v_add_nc_u32_e32 v29, 0x2d9, v198
	s_wait_alu 0xfffd
	v_add_co_ci_u32_e32 v1, vcc_lo, v161, v1, vcc_lo
	v_mad_co_u64_u32 v[25:26], null, s17, v26, v[5:6]
	v_mad_co_u64_u32 v[26:27], null, s16, v28, 0
	v_mov_b32_e32 v3, v24
	v_add_co_u32 v6, vcc_lo, v160, v6
	v_mul_hi_u32 v24, 0x50e89cc3, v29
	global_store_b128 v[0:1], v[96:99], off
	v_lshlrev_b64_e32 v[1:2], 4, v[2:3]
	s_wait_alu 0xfffd
	v_add_co_ci_u32_e32 v7, vcc_lo, v161, v7, vcc_lo
	v_dual_mov_b32 v5, v25 :: v_dual_mov_b32 v0, v27
	global_store_b128 v[6:7], v[20:23], off
	v_add_nc_u32_e32 v20, 0x32a, v28
	v_lshlrev_b64_e32 v[3:4], 4, v[4:5]
	v_mad_co_u64_u32 v[5:6], null, s17, v28, v[0:1]
	v_lshrrev_b32_e32 v6, 8, v24
	v_add_co_u32 v0, vcc_lo, v160, v1
	s_wait_alu 0xfffd
	v_add_co_ci_u32_e32 v1, vcc_lo, v161, v2, vcc_lo
	s_delay_alu instid0(VALU_DEP_3) | instskip(SKIP_3) | instid1(VALU_DEP_3)
	v_mul_u32_u24_e32 v7, 0x32a, v6
	v_add_co_u32 v2, vcc_lo, v160, v3
	s_wait_alu 0xfffd
	v_add_co_ci_u32_e32 v3, vcc_lo, v161, v4, vcc_lo
	v_sub_nc_u32_e32 v7, v29, v7
	v_dual_mov_b32 v27, v5 :: v_dual_add_nc_u32 v22, 0x654, v28
	v_mad_co_u64_u32 v[4:5], null, s16, v20, 0
	s_delay_alu instid0(VALU_DEP_3)
	v_mad_u32_u24 v24, 0x97e, v6, v7
	s_clause 0x1
	global_store_b128 v[0:1], v[92:95], off
	global_store_b128 v[2:3], v[88:91], off
	v_mad_co_u64_u32 v[2:3], null, s16, v22, 0
	v_mad_co_u64_u32 v[6:7], null, s16, v24, 0
	v_lshlrev_b64_e32 v[0:1], 4, v[26:27]
	v_add_nc_u32_e32 v27, 0x32a, v24
	v_add_nc_u32_e32 v28, 0x654, v24
	s_delay_alu instid0(VALU_DEP_4)
	v_mad_co_u64_u32 v[20:21], null, s17, v20, v[5:6]
	v_mad_co_u64_u32 v[21:22], null, s17, v22, v[3:4]
	v_mov_b32_e32 v3, v7
	v_mad_co_u64_u32 v[22:23], null, s16, v27, 0
	v_add_co_u32 v0, vcc_lo, v160, v0
	s_wait_alu 0xfffd
	v_add_co_ci_u32_e32 v1, vcc_lo, v161, v1, vcc_lo
	v_mad_co_u64_u32 v[24:25], null, s17, v24, v[3:4]
	v_mad_co_u64_u32 v[25:26], null, s16, v28, 0
	global_store_b128 v[0:1], v[16:19], off
	v_dual_mov_b32 v0, v23 :: v_dual_mov_b32 v3, v21
	v_mov_b32_e32 v5, v20
	v_mov_b32_e32 v7, v24
	s_delay_alu instid0(VALU_DEP_3) | instskip(NEXT) | instid1(VALU_DEP_4)
	v_mad_co_u64_u32 v[0:1], null, s17, v27, v[0:1]
	v_lshlrev_b64_e32 v[2:3], 4, v[2:3]
	v_mov_b32_e32 v1, v26
	v_lshlrev_b64_e32 v[4:5], 4, v[4:5]
	v_lshlrev_b64_e32 v[6:7], 4, v[6:7]
	s_delay_alu instid0(VALU_DEP_3) | instskip(NEXT) | instid1(VALU_DEP_3)
	v_mad_co_u64_u32 v[16:17], null, s17, v28, v[1:2]
	v_add_co_u32 v4, vcc_lo, v160, v4
	v_mov_b32_e32 v23, v0
	s_wait_alu 0xfffd
	v_add_co_ci_u32_e32 v5, vcc_lo, v161, v5, vcc_lo
	v_add_co_u32 v0, vcc_lo, v160, v2
	v_mov_b32_e32 v26, v16
	s_wait_alu 0xfffd
	v_add_co_ci_u32_e32 v1, vcc_lo, v161, v3, vcc_lo
	v_lshlrev_b64_e32 v[2:3], 4, v[22:23]
	v_add_co_u32 v6, vcc_lo, v160, v6
	v_lshlrev_b64_e32 v[16:17], 4, v[25:26]
	s_wait_alu 0xfffd
	v_add_co_ci_u32_e32 v7, vcc_lo, v161, v7, vcc_lo
	s_delay_alu instid0(VALU_DEP_4)
	v_add_co_u32 v2, vcc_lo, v160, v2
	s_wait_alu 0xfffd
	v_add_co_ci_u32_e32 v3, vcc_lo, v161, v3, vcc_lo
	v_add_co_u32 v16, vcc_lo, v160, v16
	s_wait_alu 0xfffd
	v_add_co_ci_u32_e32 v17, vcc_lo, v161, v17, vcc_lo
	s_clause 0x4
	global_store_b128 v[4:5], v[84:87], off
	global_store_b128 v[0:1], v[80:83], off
	;; [unrolled: 1-line block ×5, first 2 shown]
.LBB0_15:
	s_nop 0
	s_sendmsg sendmsg(MSG_DEALLOC_VGPRS)
	s_endpgm
	.section	.rodata,"a",@progbits
	.p2align	6, 0x0
	.amdhsa_kernel fft_rtc_back_len2430_factors_10_3_3_3_3_3_wgs_81_tpt_81_halfLds_dp_op_CI_CI_sbrr_dirReg
		.amdhsa_group_segment_fixed_size 0
		.amdhsa_private_segment_fixed_size 0
		.amdhsa_kernarg_size 104
		.amdhsa_user_sgpr_count 2
		.amdhsa_user_sgpr_dispatch_ptr 0
		.amdhsa_user_sgpr_queue_ptr 0
		.amdhsa_user_sgpr_kernarg_segment_ptr 1
		.amdhsa_user_sgpr_dispatch_id 0
		.amdhsa_user_sgpr_private_segment_size 0
		.amdhsa_wavefront_size32 1
		.amdhsa_uses_dynamic_stack 0
		.amdhsa_enable_private_segment 0
		.amdhsa_system_sgpr_workgroup_id_x 1
		.amdhsa_system_sgpr_workgroup_id_y 0
		.amdhsa_system_sgpr_workgroup_id_z 0
		.amdhsa_system_sgpr_workgroup_info 0
		.amdhsa_system_vgpr_workitem_id 0
		.amdhsa_next_free_vgpr 253
		.amdhsa_next_free_sgpr 43
		.amdhsa_reserve_vcc 1
		.amdhsa_float_round_mode_32 0
		.amdhsa_float_round_mode_16_64 0
		.amdhsa_float_denorm_mode_32 3
		.amdhsa_float_denorm_mode_16_64 3
		.amdhsa_fp16_overflow 0
		.amdhsa_workgroup_processor_mode 1
		.amdhsa_memory_ordered 1
		.amdhsa_forward_progress 0
		.amdhsa_round_robin_scheduling 0
		.amdhsa_exception_fp_ieee_invalid_op 0
		.amdhsa_exception_fp_denorm_src 0
		.amdhsa_exception_fp_ieee_div_zero 0
		.amdhsa_exception_fp_ieee_overflow 0
		.amdhsa_exception_fp_ieee_underflow 0
		.amdhsa_exception_fp_ieee_inexact 0
		.amdhsa_exception_int_div_zero 0
	.end_amdhsa_kernel
	.text
.Lfunc_end0:
	.size	fft_rtc_back_len2430_factors_10_3_3_3_3_3_wgs_81_tpt_81_halfLds_dp_op_CI_CI_sbrr_dirReg, .Lfunc_end0-fft_rtc_back_len2430_factors_10_3_3_3_3_3_wgs_81_tpt_81_halfLds_dp_op_CI_CI_sbrr_dirReg
                                        ; -- End function
	.section	.AMDGPU.csdata,"",@progbits
; Kernel info:
; codeLenInByte = 24712
; NumSgprs: 45
; NumVgprs: 253
; ScratchSize: 0
; MemoryBound: 1
; FloatMode: 240
; IeeeMode: 1
; LDSByteSize: 0 bytes/workgroup (compile time only)
; SGPRBlocks: 5
; VGPRBlocks: 31
; NumSGPRsForWavesPerEU: 45
; NumVGPRsForWavesPerEU: 253
; Occupancy: 5
; WaveLimiterHint : 1
; COMPUTE_PGM_RSRC2:SCRATCH_EN: 0
; COMPUTE_PGM_RSRC2:USER_SGPR: 2
; COMPUTE_PGM_RSRC2:TRAP_HANDLER: 0
; COMPUTE_PGM_RSRC2:TGID_X_EN: 1
; COMPUTE_PGM_RSRC2:TGID_Y_EN: 0
; COMPUTE_PGM_RSRC2:TGID_Z_EN: 0
; COMPUTE_PGM_RSRC2:TIDIG_COMP_CNT: 0
	.text
	.p2alignl 7, 3214868480
	.fill 96, 4, 3214868480
	.type	__hip_cuid_64bfd661d538fe52,@object ; @__hip_cuid_64bfd661d538fe52
	.section	.bss,"aw",@nobits
	.globl	__hip_cuid_64bfd661d538fe52
__hip_cuid_64bfd661d538fe52:
	.byte	0                               ; 0x0
	.size	__hip_cuid_64bfd661d538fe52, 1

	.ident	"AMD clang version 19.0.0git (https://github.com/RadeonOpenCompute/llvm-project roc-6.4.0 25133 c7fe45cf4b819c5991fe208aaa96edf142730f1d)"
	.section	".note.GNU-stack","",@progbits
	.addrsig
	.addrsig_sym __hip_cuid_64bfd661d538fe52
	.amdgpu_metadata
---
amdhsa.kernels:
  - .args:
      - .actual_access:  read_only
        .address_space:  global
        .offset:         0
        .size:           8
        .value_kind:     global_buffer
      - .offset:         8
        .size:           8
        .value_kind:     by_value
      - .actual_access:  read_only
        .address_space:  global
        .offset:         16
        .size:           8
        .value_kind:     global_buffer
      - .actual_access:  read_only
        .address_space:  global
        .offset:         24
        .size:           8
        .value_kind:     global_buffer
      - .actual_access:  read_only
        .address_space:  global
        .offset:         32
        .size:           8
        .value_kind:     global_buffer
      - .offset:         40
        .size:           8
        .value_kind:     by_value
      - .actual_access:  read_only
        .address_space:  global
        .offset:         48
        .size:           8
        .value_kind:     global_buffer
      - .actual_access:  read_only
        .address_space:  global
        .offset:         56
        .size:           8
        .value_kind:     global_buffer
      - .offset:         64
        .size:           4
        .value_kind:     by_value
      - .actual_access:  read_only
        .address_space:  global
        .offset:         72
        .size:           8
        .value_kind:     global_buffer
      - .actual_access:  read_only
        .address_space:  global
        .offset:         80
        .size:           8
        .value_kind:     global_buffer
      - .actual_access:  read_only
        .address_space:  global
        .offset:         88
        .size:           8
        .value_kind:     global_buffer
      - .actual_access:  write_only
        .address_space:  global
        .offset:         96
        .size:           8
        .value_kind:     global_buffer
    .group_segment_fixed_size: 0
    .kernarg_segment_align: 8
    .kernarg_segment_size: 104
    .language:       OpenCL C
    .language_version:
      - 2
      - 0
    .max_flat_workgroup_size: 81
    .name:           fft_rtc_back_len2430_factors_10_3_3_3_3_3_wgs_81_tpt_81_halfLds_dp_op_CI_CI_sbrr_dirReg
    .private_segment_fixed_size: 0
    .sgpr_count:     45
    .sgpr_spill_count: 0
    .symbol:         fft_rtc_back_len2430_factors_10_3_3_3_3_3_wgs_81_tpt_81_halfLds_dp_op_CI_CI_sbrr_dirReg.kd
    .uniform_work_group_size: 1
    .uses_dynamic_stack: false
    .vgpr_count:     253
    .vgpr_spill_count: 0
    .wavefront_size: 32
    .workgroup_processor_mode: 1
amdhsa.target:   amdgcn-amd-amdhsa--gfx1201
amdhsa.version:
  - 1
  - 2
...

	.end_amdgpu_metadata
